;; amdgpu-corpus repo=ROCm/rocFFT kind=compiled arch=gfx906 opt=O3
	.text
	.amdgcn_target "amdgcn-amd-amdhsa--gfx906"
	.amdhsa_code_object_version 6
	.protected	bluestein_single_back_len238_dim1_half_op_CI_CI ; -- Begin function bluestein_single_back_len238_dim1_half_op_CI_CI
	.globl	bluestein_single_back_len238_dim1_half_op_CI_CI
	.p2align	8
	.type	bluestein_single_back_len238_dim1_half_op_CI_CI,@function
bluestein_single_back_len238_dim1_half_op_CI_CI: ; @bluestein_single_back_len238_dim1_half_op_CI_CI
; %bb.0:
	v_mul_u32_u24_e32 v1, 0xf10, v0
	s_load_dwordx4 s[0:3], s[4:5], 0x28
	v_lshrrev_b32_e32 v1, 16, v1
	v_mad_u64_u32 v[4:5], s[6:7], s6, 3, v[1:2]
	v_mov_b32_e32 v5, 0
	s_waitcnt lgkmcnt(0)
	v_cmp_gt_u64_e32 vcc, s[0:1], v[4:5]
	s_and_saveexec_b64 s[0:1], vcc
	s_cbranch_execz .LBB0_15
; %bb.1:
	s_mov_b32 s0, 0xaaaaaaab
	v_mul_hi_u32 v2, v4, s0
	v_mul_lo_u16_e32 v1, 17, v1
	s_load_dwordx2 s[6:7], s[4:5], 0x0
	s_load_dwordx2 s[12:13], s[4:5], 0x38
	v_sub_u16_e32 v23, v0, v1
	v_lshrrev_b32_e32 v0, 1, v2
	v_lshl_add_u32 v0, v0, 1, v0
	v_sub_u32_e32 v0, v4, v0
	v_mul_u32_u24_e32 v25, 0xee, v0
	v_cmp_gt_u16_e32 vcc, 14, v23
	v_lshlrev_b32_e32 v24, 2, v23
	v_lshlrev_b32_e32 v26, 2, v25
	s_and_saveexec_b64 s[14:15], vcc
	s_cbranch_execz .LBB0_3
; %bb.2:
	s_load_dwordx2 s[0:1], s[4:5], 0x18
	v_lshl_add_u32 v17, v23, 2, v26
	v_add_u32_e32 v18, v26, v24
	s_waitcnt lgkmcnt(0)
	s_load_dwordx4 s[8:11], s[0:1], 0x0
	s_waitcnt lgkmcnt(0)
	v_mad_u64_u32 v[0:1], s[0:1], s10, v4, 0
	v_mad_u64_u32 v[2:3], s[0:1], s8, v23, 0
	;; [unrolled: 1-line block ×4, first 2 shown]
	v_mov_b32_e32 v1, v5
	v_lshlrev_b64 v[0:1], 2, v[0:1]
	v_mov_b32_e32 v3, v6
	v_mov_b32_e32 v7, s3
	v_lshlrev_b64 v[2:3], 2, v[2:3]
	v_add_co_u32_e64 v8, s[0:1], s2, v0
	v_addc_co_u32_e64 v7, s[0:1], v7, v1, s[0:1]
	v_add_co_u32_e64 v0, s[0:1], v8, v2
	v_addc_co_u32_e64 v1, s[0:1], v7, v3, s[0:1]
	s_mul_i32 s0, s9, 56
	s_mul_hi_u32 s3, s8, 56
	s_add_i32 s3, s3, s0
	s_mul_i32 s2, s8, 56
	v_mov_b32_e32 v3, s3
	v_add_co_u32_e64 v2, s[0:1], s2, v0
	v_addc_co_u32_e64 v3, s[0:1], v1, v3, s[0:1]
	global_load_dword v9, v[0:1], off
	global_load_dword v10, v[2:3], off
	global_load_dword v11, v24, s[6:7]
	global_load_dword v12, v24, s[6:7] offset:56
	v_mov_b32_e32 v1, s3
	v_add_co_u32_e64 v0, s[0:1], s2, v2
	v_addc_co_u32_e64 v1, s[0:1], v3, v1, s[0:1]
	global_load_dword v13, v[0:1], off
	global_load_dword v14, v24, s[6:7] offset:112
	v_mov_b32_e32 v2, s3
	v_add_co_u32_e64 v0, s[0:1], s2, v0
	v_addc_co_u32_e64 v1, s[0:1], v1, v2, s[0:1]
	global_load_dword v15, v[0:1], off
	global_load_dword v16, v24, s[6:7] offset:168
	v_or_b32_e32 v5, 0x70, v23
	v_mad_u64_u32 v[2:3], s[0:1], s8, v5, 0
	v_mov_b32_e32 v27, s3
	global_load_dword v19, v24, s[6:7] offset:224
	global_load_dword v20, v24, s[6:7] offset:280
	;; [unrolled: 1-line block ×4, first 2 shown]
	v_mad_u64_u32 v[5:6], s[0:1], s9, v5, v[3:4]
	v_add_co_u32_e64 v0, s[0:1], s2, v0
	v_addc_co_u32_e64 v1, s[0:1], v1, v27, s[0:1]
	global_load_dword v27, v[0:1], off
	v_mov_b32_e32 v28, s3
	v_add_co_u32_e64 v0, s[0:1], s2, v0
	v_addc_co_u32_e64 v1, s[0:1], v1, v28, s[0:1]
	global_load_dword v28, v[0:1], off
	v_mov_b32_e32 v29, s3
	;; [unrolled: 4-line block ×3, first 2 shown]
	v_add_co_u32_e64 v0, s[0:1], s2, v0
	v_addc_co_u32_e64 v1, s[0:1], v1, v30, s[0:1]
	v_mov_b32_e32 v34, s3
	s_waitcnt vmcnt(14)
	v_lshrrev_b32_e32 v3, 16, v9
	s_waitcnt vmcnt(12)
	v_mul_f16_sdwa v6, v11, v9 dst_sel:DWORD dst_unused:UNUSED_PAD src0_sel:WORD_1 src1_sel:DWORD
	v_mul_f16_sdwa v31, v11, v3 dst_sel:DWORD dst_unused:UNUSED_PAD src0_sel:WORD_1 src1_sel:DWORD
	v_fma_f16 v3, v11, v3, -v6
	v_lshrrev_b32_e32 v6, 16, v10
	s_waitcnt vmcnt(11)
	v_mul_f16_sdwa v32, v12, v10 dst_sel:DWORD dst_unused:UNUSED_PAD src0_sel:WORD_1 src1_sel:DWORD
	v_fma_f16 v9, v11, v9, v31
	v_mul_f16_sdwa v11, v12, v6 dst_sel:DWORD dst_unused:UNUSED_PAD src0_sel:WORD_1 src1_sel:DWORD
	s_waitcnt vmcnt(10)
	v_lshrrev_b32_e32 v31, 16, v13
	v_fma_f16 v6, v12, v6, -v32
	s_waitcnt vmcnt(9)
	v_mul_f16_sdwa v32, v14, v13 dst_sel:DWORD dst_unused:UNUSED_PAD src0_sel:WORD_1 src1_sel:DWORD
	v_pack_b32_f16 v3, v9, v3
	v_fma_f16 v9, v12, v10, v11
	v_mul_f16_sdwa v10, v14, v31 dst_sel:DWORD dst_unused:UNUSED_PAD src0_sel:WORD_1 src1_sel:DWORD
	v_fma_f16 v11, v14, v31, -v32
	ds_write_b32 v17, v3
	v_pack_b32_f16 v3, v9, v6
	v_fma_f16 v6, v14, v13, v10
	s_waitcnt vmcnt(8)
	v_lshrrev_b32_e32 v12, 16, v15
	v_pack_b32_f16 v6, v6, v11
	s_waitcnt vmcnt(7)
	v_mul_f16_sdwa v31, v16, v15 dst_sel:DWORD dst_unused:UNUSED_PAD src0_sel:WORD_1 src1_sel:DWORD
	v_mul_f16_sdwa v9, v16, v12 dst_sel:DWORD dst_unused:UNUSED_PAD src0_sel:WORD_1 src1_sel:DWORD
	ds_write2_b32 v18, v3, v6 offset0:14 offset1:28
	v_mov_b32_e32 v3, v5
	v_fma_f16 v10, v16, v12, -v31
	v_fma_f16 v9, v16, v15, v9
	v_lshlrev_b64 v[2:3], 2, v[2:3]
	v_mov_b32_e32 v5, 0x70
	v_pack_b32_f16 v9, v9, v10
	global_load_dword v10, v[0:1], off
	v_mad_u64_u32 v[0:1], s[0:1], s8, v5, v[0:1]
	v_add_co_u32_e64 v2, s[0:1], v8, v2
	v_addc_co_u32_e64 v3, s[0:1], v7, v3, s[0:1]
	s_mul_i32 s0, s9, 0x70
	global_load_dword v11, v[2:3], off
	v_add_u32_e32 v1, s0, v1
	global_load_dword v12, v[0:1], off
	global_load_dword v13, v24, s[6:7] offset:448
	v_mov_b32_e32 v2, s3
	v_add_co_u32_e64 v0, s[0:1], s2, v0
	v_addc_co_u32_e64 v1, s[0:1], v1, v2, s[0:1]
	global_load_dword v14, v[0:1], off
	v_add_co_u32_e64 v0, s[0:1], s2, v0
	v_addc_co_u32_e64 v1, s[0:1], v1, v2, s[0:1]
	global_load_dword v15, v24, s[6:7] offset:504
	global_load_dword v16, v[0:1], off
	global_load_dword v17, v24, s[6:7] offset:560
	v_add_co_u32_e64 v0, s[0:1], s2, v0
	v_addc_co_u32_e64 v1, s[0:1], v1, v2, s[0:1]
	global_load_dword v30, v[0:1], off
	global_load_dword v31, v24, s[6:7] offset:616
	global_load_dword v32, v24, s[6:7] offset:672
	v_add_co_u32_e64 v0, s[0:1], s2, v0
	v_addc_co_u32_e64 v1, s[0:1], v1, v2, s[0:1]
	global_load_dword v33, v[0:1], off
	v_add_co_u32_e64 v0, s[0:1], s2, v0
	v_or_b32_e32 v5, 0xe0, v23
	v_addc_co_u32_e64 v1, s[0:1], v1, v2, s[0:1]
	v_mad_u64_u32 v[2:3], s[0:1], s8, v5, 0
	global_load_dword v35, v24, s[6:7] offset:728
	global_load_dword v36, v[0:1], off
	v_mad_u64_u32 v[5:6], s[0:1], s9, v5, v[3:4]
	global_load_dword v6, v24, s[6:7] offset:784
	v_add_co_u32_e64 v0, s[0:1], s2, v0
	v_addc_co_u32_e64 v1, s[0:1], v1, v34, s[0:1]
	v_mov_b32_e32 v3, v5
	global_load_dword v5, v24, s[6:7] offset:840
	global_load_dword v34, v[0:1], off
	v_lshlrev_b64 v[0:1], 2, v[2:3]
	v_add_co_u32_e64 v0, s[0:1], v8, v0
	v_addc_co_u32_e64 v1, s[0:1], v7, v1, s[0:1]
	global_load_dword v2, v[0:1], off
	global_load_dword v3, v24, s[6:7] offset:896
	s_waitcnt vmcnt(21)
	v_lshrrev_b32_e32 v0, 16, v27
	v_mul_f16_sdwa v1, v19, v0 dst_sel:DWORD dst_unused:UNUSED_PAD src0_sel:WORD_1 src1_sel:DWORD
	v_mul_f16_sdwa v7, v19, v27 dst_sel:DWORD dst_unused:UNUSED_PAD src0_sel:WORD_1 src1_sel:DWORD
	v_fma_f16 v1, v19, v27, v1
	v_fma_f16 v0, v19, v0, -v7
	v_pack_b32_f16 v0, v1, v0
	ds_write2_b32 v18, v9, v0 offset0:42 offset1:56
	s_waitcnt vmcnt(20)
	v_lshrrev_b32_e32 v0, 16, v28
	v_mul_f16_sdwa v1, v20, v0 dst_sel:DWORD dst_unused:UNUSED_PAD src0_sel:WORD_1 src1_sel:DWORD
	v_mul_f16_sdwa v7, v20, v28 dst_sel:DWORD dst_unused:UNUSED_PAD src0_sel:WORD_1 src1_sel:DWORD
	v_fma_f16 v1, v20, v28, v1
	v_fma_f16 v0, v20, v0, -v7
	v_pack_b32_f16 v0, v1, v0
	s_waitcnt vmcnt(19)
	v_lshrrev_b32_e32 v1, 16, v29
	v_mul_f16_sdwa v7, v21, v1 dst_sel:DWORD dst_unused:UNUSED_PAD src0_sel:WORD_1 src1_sel:DWORD
	v_mul_f16_sdwa v8, v21, v29 dst_sel:DWORD dst_unused:UNUSED_PAD src0_sel:WORD_1 src1_sel:DWORD
	v_fma_f16 v7, v21, v29, v7
	v_fma_f16 v1, v21, v1, -v8
	v_pack_b32_f16 v1, v7, v1
	ds_write2_b32 v18, v0, v1 offset0:70 offset1:84
	s_waitcnt vmcnt(18)
	v_lshrrev_b32_e32 v0, 16, v10
	v_mul_f16_sdwa v1, v22, v0 dst_sel:DWORD dst_unused:UNUSED_PAD src0_sel:WORD_1 src1_sel:DWORD
	v_mul_f16_sdwa v7, v22, v10 dst_sel:DWORD dst_unused:UNUSED_PAD src0_sel:WORD_1 src1_sel:DWORD
	v_fma_f16 v1, v22, v10, v1
	v_fma_f16 v0, v22, v0, -v7
	v_pack_b32_f16 v0, v1, v0
	s_waitcnt vmcnt(17)
	v_lshrrev_b32_e32 v1, 16, v11
	s_waitcnt vmcnt(15)
	v_mul_f16_sdwa v7, v13, v1 dst_sel:DWORD dst_unused:UNUSED_PAD src0_sel:WORD_1 src1_sel:DWORD
	v_mul_f16_sdwa v8, v13, v11 dst_sel:DWORD dst_unused:UNUSED_PAD src0_sel:WORD_1 src1_sel:DWORD
	v_fma_f16 v7, v13, v11, v7
	v_fma_f16 v1, v13, v1, -v8
	v_pack_b32_f16 v1, v7, v1
	ds_write2_b32 v18, v0, v1 offset0:98 offset1:112
	v_lshrrev_b32_e32 v0, 16, v12
	s_waitcnt vmcnt(13)
	v_mul_f16_sdwa v1, v15, v0 dst_sel:DWORD dst_unused:UNUSED_PAD src0_sel:WORD_1 src1_sel:DWORD
	v_mul_f16_sdwa v7, v15, v12 dst_sel:DWORD dst_unused:UNUSED_PAD src0_sel:WORD_1 src1_sel:DWORD
	v_fma_f16 v1, v15, v12, v1
	v_fma_f16 v0, v15, v0, -v7
	v_pack_b32_f16 v0, v1, v0
	v_lshrrev_b32_e32 v1, 16, v14
	s_waitcnt vmcnt(11)
	v_mul_f16_sdwa v7, v17, v1 dst_sel:DWORD dst_unused:UNUSED_PAD src0_sel:WORD_1 src1_sel:DWORD
	v_mul_f16_sdwa v8, v17, v14 dst_sel:DWORD dst_unused:UNUSED_PAD src0_sel:WORD_1 src1_sel:DWORD
	v_fma_f16 v7, v17, v14, v7
	v_fma_f16 v1, v17, v1, -v8
	v_pack_b32_f16 v1, v7, v1
	ds_write2_b32 v18, v0, v1 offset0:126 offset1:140
	v_lshrrev_b32_e32 v0, 16, v16
	s_waitcnt vmcnt(9)
	v_mul_f16_sdwa v1, v31, v0 dst_sel:DWORD dst_unused:UNUSED_PAD src0_sel:WORD_1 src1_sel:DWORD
	v_mul_f16_sdwa v7, v31, v16 dst_sel:DWORD dst_unused:UNUSED_PAD src0_sel:WORD_1 src1_sel:DWORD
	v_fma_f16 v1, v31, v16, v1
	v_fma_f16 v0, v31, v0, -v7
	v_pack_b32_f16 v0, v1, v0
	v_lshrrev_b32_e32 v1, 16, v30
	s_waitcnt vmcnt(8)
	v_mul_f16_sdwa v7, v32, v1 dst_sel:DWORD dst_unused:UNUSED_PAD src0_sel:WORD_1 src1_sel:DWORD
	v_mul_f16_sdwa v8, v32, v30 dst_sel:DWORD dst_unused:UNUSED_PAD src0_sel:WORD_1 src1_sel:DWORD
	v_fma_f16 v7, v32, v30, v7
	v_fma_f16 v1, v32, v1, -v8
	v_pack_b32_f16 v1, v7, v1
	ds_write2_b32 v18, v0, v1 offset0:154 offset1:168
	s_waitcnt vmcnt(7)
	v_lshrrev_b32_e32 v0, 16, v33
	s_waitcnt vmcnt(6)
	v_mul_f16_sdwa v1, v35, v0 dst_sel:DWORD dst_unused:UNUSED_PAD src0_sel:WORD_1 src1_sel:DWORD
	v_mul_f16_sdwa v7, v35, v33 dst_sel:DWORD dst_unused:UNUSED_PAD src0_sel:WORD_1 src1_sel:DWORD
	v_fma_f16 v1, v35, v33, v1
	v_fma_f16 v0, v35, v0, -v7
	v_pack_b32_f16 v0, v1, v0
	s_waitcnt vmcnt(5)
	v_lshrrev_b32_e32 v1, 16, v36
	s_waitcnt vmcnt(4)
	v_mul_f16_sdwa v7, v6, v1 dst_sel:DWORD dst_unused:UNUSED_PAD src0_sel:WORD_1 src1_sel:DWORD
	v_mul_f16_sdwa v8, v6, v36 dst_sel:DWORD dst_unused:UNUSED_PAD src0_sel:WORD_1 src1_sel:DWORD
	v_fma_f16 v7, v6, v36, v7
	v_fma_f16 v1, v6, v1, -v8
	v_pack_b32_f16 v1, v7, v1
	ds_write2_b32 v18, v0, v1 offset0:182 offset1:196
	s_waitcnt vmcnt(2)
	v_lshrrev_b32_e32 v0, 16, v34
	v_mul_f16_sdwa v1, v5, v0 dst_sel:DWORD dst_unused:UNUSED_PAD src0_sel:WORD_1 src1_sel:DWORD
	v_mul_f16_sdwa v6, v5, v34 dst_sel:DWORD dst_unused:UNUSED_PAD src0_sel:WORD_1 src1_sel:DWORD
	v_fma_f16 v1, v5, v34, v1
	v_fma_f16 v0, v5, v0, -v6
	v_pack_b32_f16 v0, v1, v0
	s_waitcnt vmcnt(1)
	v_lshrrev_b32_e32 v1, 16, v2
	s_waitcnt vmcnt(0)
	v_mul_f16_sdwa v5, v3, v1 dst_sel:DWORD dst_unused:UNUSED_PAD src0_sel:WORD_1 src1_sel:DWORD
	v_fma_f16 v5, v3, v2, v5
	v_mul_f16_sdwa v2, v3, v2 dst_sel:DWORD dst_unused:UNUSED_PAD src0_sel:WORD_1 src1_sel:DWORD
	v_fma_f16 v1, v3, v1, -v2
	v_pack_b32_f16 v1, v5, v1
	ds_write2_b32 v18, v0, v1 offset0:210 offset1:224
.LBB0_3:
	s_or_b64 exec, exec, s[14:15]
	s_load_dwordx2 s[2:3], s[4:5], 0x20
	s_load_dwordx2 s[0:1], s[4:5], 0x8
	v_mov_b32_e32 v0, 0
	s_waitcnt lgkmcnt(0)
	; wave barrier
	s_waitcnt lgkmcnt(0)
                                        ; implicit-def: $vgpr19
                                        ; implicit-def: $vgpr3
                                        ; implicit-def: $vgpr8
                                        ; implicit-def: $vgpr10
                                        ; implicit-def: $vgpr12
                                        ; implicit-def: $vgpr14
                                        ; implicit-def: $vgpr16
                                        ; implicit-def: $vgpr18
                                        ; implicit-def: $vgpr43
	s_and_saveexec_b64 s[4:5], vcc
	s_cbranch_execz .LBB0_5
; %bb.4:
	v_lshl_add_u32 v5, v25, 2, v24
	ds_read2_b32 v[0:1], v5 offset1:14
	ds_read2_b32 v[17:18], v5 offset0:28 offset1:42
	ds_read2_b32 v[15:16], v5 offset0:56 offset1:70
	;; [unrolled: 1-line block ×7, first 2 shown]
	ds_read_b32 v19, v5 offset:896
	s_waitcnt lgkmcnt(0)
	v_alignbit_b32 v43, v17, v17, 16
.LBB0_5:
	s_or_b64 exec, exec, s[4:5]
	v_pk_add_f16 v17, v1, v19 neg_lo:[0,1] neg_hi:[0,1]
	s_mov_b32 s23, 0xbb29
	v_pk_add_f16 v20, v19, v1
	s_movk_i32 s10, 0x3722
	v_mul_f16_sdwa v47, v17, s23 dst_sel:DWORD dst_unused:UNUSED_PAD src0_sel:WORD_1 src1_sel:DWORD
	s_mov_b32 s25, 0xb5c8
	v_fma_f16 v21, v20, s10, v47
	s_movk_i32 s8, 0x3b76
	v_mul_f16_sdwa v35, v17, s25 dst_sel:DWORD dst_unused:UNUSED_PAD src0_sel:WORD_1 src1_sel:DWORD
	s_mov_b32 s27, 0xb964
	v_add_f16_e32 v27, v21, v0
	v_pk_add_f16 v21, v3, v43 op_sel:[1,0] op_sel_hi:[0,1]
	v_pk_add_f16 v22, v43, v3 op_sel:[1,0] op_sel_hi:[0,1] neg_lo:[0,1] neg_hi:[0,1]
	v_fma_f16 v5, v20, s8, v35
	v_lshrrev_b32_e32 v58, 16, v20
	s_movk_i32 s9, 0x39e9
	v_mul_f16_e32 v39, 0xb964, v17
	v_lshrrev_b32_e32 v57, 16, v21
	v_mul_f16_sdwa v38, v22, s27 dst_sel:DWORD dst_unused:UNUSED_PAD src0_sel:WORD_1 src1_sel:DWORD
	v_add_f16_e32 v5, v5, v0
	v_fma_f16 v6, v58, s9, -v39
	v_fma_f16 v28, v57, s9, v38
	s_movk_i32 s14, 0x2de8
	v_mul_f16_e32 v44, 0xbbf7, v22
	s_mov_b32 s11, 0xba62
	v_add_f16_sdwa v6, v6, v0 dst_sel:DWORD dst_unused:UNUSED_PAD src0_sel:DWORD src1_sel:WORD_1
	v_add_f16_e32 v5, v28, v5
	v_fma_f16 v28, v21, s14, -v44
	s_mov_b32 s15, 0xb8d2
	v_mul_f16_sdwa v52, v22, s11 dst_sel:DWORD dst_unused:UNUSED_PAD src0_sel:WORD_1 src1_sel:DWORD
	v_mul_f16_e32 v60, 0xbb29, v17
	v_add_f16_e32 v6, v28, v6
	v_fma_f16 v28, v57, s15, v52
	v_add_f16_e32 v27, v28, v27
	v_fma_f16 v28, v58, s10, -v60
	v_mul_f16_e32 v66, 0xba62, v22
	v_pk_add_f16 v32, v18, v2 neg_lo:[0,1] neg_hi:[0,1]
	v_add_f16_sdwa v28, v28, v0 dst_sel:DWORD dst_unused:UNUSED_PAD src0_sel:DWORD src1_sel:WORD_1
	v_fma_f16 v29, v21, s15, -v66
	v_pk_add_f16 v33, v2, v18
	v_mul_f16_sdwa v42, v32, s23 dst_sel:DWORD dst_unused:UNUSED_PAD src0_sel:WORD_1 src1_sel:DWORD
	v_add_f16_e32 v28, v29, v28
	v_fma_f16 v29, v33, s10, v42
	v_lshrrev_b32_e32 v63, 16, v33
	v_mul_f16_e32 v50, 0xba62, v32
	s_movk_i32 s31, 0x31e1
	v_add_f16_e32 v5, v29, v5
	v_fma_f16 v29, v63, s15, -v50
	s_mov_b32 s16, 0xbbdd
	v_mul_f16_sdwa v56, v32, s31 dst_sel:DWORD dst_unused:UNUSED_PAD src0_sel:WORD_1 src1_sel:DWORD
	v_add_f16_e32 v6, v29, v6
	v_fma_f16 v29, v33, s16, v56
	v_mul_f16_e32 v70, 0x31e1, v32
	s_mov_b32 s29, 0xbbf7
	v_pk_add_f16 v34, v15, v8 neg_lo:[0,1] neg_hi:[0,1]
	v_add_f16_e32 v27, v29, v27
	v_fma_f16 v29, v63, s16, -v70
	v_pk_add_f16 v36, v8, v15
	v_mul_f16_sdwa v48, v34, s29 dst_sel:DWORD dst_unused:UNUSED_PAD src0_sel:WORD_1 src1_sel:DWORD
	v_add_f16_e32 v28, v29, v28
	v_fma_f16 v29, v36, s14, v48
	v_lshrrev_b32_e32 v65, 16, v36
	v_mul_f16_e32 v55, 0xb1e1, v34
	s_movk_i32 s30, 0x3bb2
	v_add_f16_e32 v5, v29, v5
	v_fma_f16 v29, v65, s16, -v55
	s_mov_b32 s18, 0xb461
	v_mul_f16_sdwa v61, v34, s30 dst_sel:DWORD dst_unused:UNUSED_PAD src0_sel:WORD_1 src1_sel:DWORD
	v_add_f16_e32 v6, v29, v6
	v_fma_f16 v29, v36, s18, v61
	v_mul_f16_e32 v74, 0x3bb2, v34
	s_mov_b32 s17, 0xbbb2
	v_pk_add_f16 v37, v16, v7 neg_lo:[0,1] neg_hi:[0,1]
	v_add_f16_e32 v27, v29, v27
	v_fma_f16 v29, v65, s18, -v74
	v_pk_add_f16 v40, v7, v16
	v_mul_f16_sdwa v53, v37, s17 dst_sel:DWORD dst_unused:UNUSED_PAD src0_sel:WORD_1 src1_sel:DWORD
	v_add_f16_e32 v28, v29, v28
	v_fma_f16 v29, v40, s18, v53
	s_mov_b32 s20, 0xbacd
	v_lshrrev_b32_e32 v71, 16, v40
	v_mul_f16_e32 v62, 0x3836, v37
	s_movk_i32 s19, 0x3964
	v_add_f16_e32 v5, v29, v5
	v_fma_f16 v29, v71, s20, -v62
	v_mul_f16_sdwa v68, v37, s19 dst_sel:DWORD dst_unused:UNUSED_PAD src0_sel:WORD_1 src1_sel:DWORD
	v_add_f16_e32 v6, v29, v6
	v_fma_f16 v29, v40, s9, v68
	v_mul_f16_e32 v78, 0x3964, v37
	v_pk_add_f16 v41, v13, v10 neg_lo:[0,1] neg_hi:[0,1]
	v_add_f16_e32 v27, v29, v27
	v_fma_f16 v29, v71, s9, -v78
	v_pk_add_f16 v45, v10, v13
	v_mul_f16_sdwa v59, v41, s11 dst_sel:DWORD dst_unused:UNUSED_PAD src0_sel:WORD_1 src1_sel:DWORD
	v_add_f16_e32 v28, v29, v28
	v_fma_f16 v29, v45, s15, v59
	v_lshrrev_b32_e32 v75, 16, v45
	v_mul_f16_e32 v67, 0x3bb2, v41
	v_add_f16_e32 v5, v29, v5
	v_fma_f16 v29, v75, s18, -v67
	v_mul_f16_sdwa v72, v41, s25 dst_sel:DWORD dst_unused:UNUSED_PAD src0_sel:WORD_1 src1_sel:DWORD
	v_add_f16_e32 v6, v29, v6
	v_fma_f16 v29, v45, s8, v72
	v_mul_f16_e32 v81, 0xb5c8, v41
	s_mov_b32 s21, 0xb836
	v_pk_add_f16 v46, v14, v9 neg_lo:[0,1] neg_hi:[0,1]
	v_add_f16_e32 v27, v29, v27
	v_fma_f16 v29, v75, s8, -v81
	v_pk_add_f16 v49, v9, v14
	v_mul_f16_sdwa v64, v46, s21 dst_sel:DWORD dst_unused:UNUSED_PAD src0_sel:WORD_1 src1_sel:DWORD
	v_add_f16_e32 v28, v29, v28
	v_fma_f16 v29, v49, s20, v64
	v_lshrrev_b32_e32 v77, 16, v49
	v_mul_f16_e32 v73, 0x3b29, v46
	v_add_f16_e32 v5, v29, v5
	v_fma_f16 v29, v77, s10, -v73
	v_mul_f16_sdwa v76, v46, s29 dst_sel:DWORD dst_unused:UNUSED_PAD src0_sel:WORD_1 src1_sel:DWORD
	v_add_f16_e32 v29, v29, v6
	v_fma_f16 v6, v49, s14, v76
	v_mul_f16_e32 v87, 0xbbf7, v46
	s_mov_b32 s22, 0xb1e1
	v_pk_add_f16 v51, v11, v12 neg_lo:[0,1] neg_hi:[0,1]
	s_mov_b32 s4, 0x3b7639e9
	v_add_f16_e32 v6, v6, v27
	v_fma_f16 v27, v77, s14, -v87
	v_pk_add_f16 v54, v12, v11
	v_mul_f16_sdwa v69, v51, s22 dst_sel:DWORD dst_unused:UNUSED_PAD src0_sel:WORD_1 src1_sel:DWORD
	s_mov_b32 s5, 0xb964b5c8
	s_mov_b32 s26, 0xbbf7b964
	v_pk_mul_f16 v31, v20, s4
	v_add_f16_e32 v27, v27, v28
	v_fma_f16 v28, v54, s16, v69
	s_mov_b32 s24, 0x2de839e9
	s_mov_b32 s28, 0x3722b8d2
	v_pk_fma_f16 v79, v17, s5, v31 op_sel:[0,0,1] op_sel_hi:[1,1,0]
	v_pk_mul_f16 v88, v22, s26
	v_add_f16_e32 v28, v28, v5
	s_mov_b32 s33, 0xba62bb29
	s_mov_b32 s34, 0x2de8bbdd
	v_pk_fma_f16 v80, v21, s24, v88
	v_add_f16_sdwa v5, v79, v0 dst_sel:DWORD dst_unused:UNUSED_PAD src0_sel:WORD_1 src1_sel:DWORD
	v_pk_mul_f16 v93, v33, s28
	s_mov_b32 s35, 0xb1e1bbf7
	s_mov_b32 s36, 0xb461bacd
	v_add_f16_sdwa v5, v80, v5 dst_sel:DWORD dst_unused:UNUSED_PAD src0_sel:WORD_1 src1_sel:DWORD
	v_pk_fma_f16 v82, v32, s33, v93 op_sel:[0,0,1] op_sel_hi:[1,1,0]
	v_pk_mul_f16 v94, v36, s34
	s_mov_b32 s37, 0x3836bbb2
	s_mov_b32 s38, 0xb8d2b461
	v_add_f16_sdwa v5, v82, v5 dst_sel:DWORD dst_unused:UNUSED_PAD src0_sel:WORD_1 src1_sel:DWORD
	v_pk_fma_f16 v83, v34, s35, v94 op_sel:[0,0,1] op_sel_hi:[1,1,0]
	;; [unrolled: 5-line block ×4, first 2 shown]
	v_pk_mul_f16 v97, v49, s40
	s_mov_b32 s43, 0x35c8b1e1
	v_add_f16_sdwa v5, v85, v5 dst_sel:DWORD dst_unused:UNUSED_PAD src0_sel:WORD_1 src1_sel:DWORD
	v_pk_fma_f16 v86, v46, s41, v97 op_sel:[0,0,1] op_sel_hi:[1,1,0]
	v_mul_f16_sdwa v99, v51, s21 dst_sel:DWORD dst_unused:UNUSED_PAD src0_sel:WORD_1 src1_sel:DWORD
	v_pk_mul_f16 v98, v54, s42
	v_add_f16_sdwa v30, v86, v5 dst_sel:DWORD dst_unused:UNUSED_PAD src0_sel:WORD_1 src1_sel:DWORD
	v_fma_f16 v5, v54, s20, v99
	v_pk_fma_f16 v89, v51, s43, v98 op_sel:[0,0,1] op_sel_hi:[1,1,0]
	v_lshrrev_b32_e32 v100, 16, v54
	v_mul_f16_e32 v90, 0x35c8, v51
	v_add_f16_e32 v5, v5, v6
	v_add_f16_sdwa v6, v89, v30 dst_sel:DWORD dst_unused:UNUSED_PAD src0_sel:WORD_1 src1_sel:DWORD
	v_fma_f16 v30, v100, s8, -v90
	v_mul_f16_e32 v101, 0xb836, v51
	v_add_f16_e32 v29, v30, v29
	v_fma_f16 v30, v100, s20, -v101
	v_pk_fma_f16 v91, v17, s5, v31 op_sel:[0,0,1] op_sel_hi:[1,1,0] neg_lo:[1,0,0] neg_hi:[1,0,0]
	v_add_f16_e32 v30, v30, v27
	v_pk_fma_f16 v92, v21, s24, v88 neg_lo:[0,0,1] neg_hi:[0,0,1]
	v_add_f16_sdwa v27, v91, v0 dst_sel:DWORD dst_unused:UNUSED_PAD src0_sel:DWORD src1_sel:WORD_1
	v_pk_fma_f16 v93, v32, s33, v93 op_sel:[0,0,1] op_sel_hi:[1,1,0] neg_lo:[1,0,0] neg_hi:[1,0,0]
	v_add_f16_e32 v27, v92, v27
	v_pk_fma_f16 v94, v34, s35, v94 op_sel:[0,0,1] op_sel_hi:[1,1,0] neg_lo:[1,0,0] neg_hi:[1,0,0]
	v_add_f16_e32 v27, v93, v27
	;; [unrolled: 2-line block ×6, first 2 shown]
	s_movk_i32 s33, 0x3836
	s_movk_i32 s24, 0x3b29
	v_add_f16_e32 v31, v98, v27
	s_movk_i32 s26, 0x35c8
	v_mul_lo_u16_e32 v27, 17, v23
	s_waitcnt lgkmcnt(0)
	; wave barrier
	s_waitcnt lgkmcnt(0)
	s_and_saveexec_b64 s[4:5], vcc
	s_cbranch_execz .LBB0_7
; %bb.6:
	v_mul_f16_e32 v102, 0x2de8, v58
	s_movk_i32 s28, 0x3bf7
	v_fma_f16 v88, v17, s28, v102
	v_mul_f16_e32 v103, 0xbbdd, v21
	v_add_f16_sdwa v88, v88, v0 dst_sel:DWORD dst_unused:UNUSED_PAD src0_sel:DWORD src1_sel:WORD_1
	v_fma_f16 v104, v22, s31, v103
	v_add_f16_e32 v88, v104, v88
	v_mul_f16_e32 v104, 0xb461, v63
	v_fma_f16 v105, v32, s17, v104
	v_add_f16_e32 v88, v105, v88
	v_mul_f16_e32 v105, 0x3b76, v65
	;; [unrolled: 3-line block ×6, first 2 shown]
	v_fma_f16 v110, v51, s27, v109
	v_add_f16_e32 v88, v110, v88
	v_mul_f16_sdwa v110, v17, s29 dst_sel:DWORD dst_unused:UNUSED_PAD src0_sel:WORD_1 src1_sel:DWORD
	v_fma_f16 v111, v20, s14, v110
	v_mul_f16_sdwa v112, v22, s22 dst_sel:DWORD dst_unused:UNUSED_PAD src0_sel:WORD_1 src1_sel:DWORD
	v_add_f16_e32 v111, v111, v0
	v_fma_f16 v113, v57, s16, v112
	v_add_f16_e32 v111, v113, v111
	v_mul_f16_sdwa v113, v32, s30 dst_sel:DWORD dst_unused:UNUSED_PAD src0_sel:WORD_1 src1_sel:DWORD
	v_fma_f16 v114, v33, s18, v113
	v_add_f16_e32 v111, v114, v111
	v_mul_f16_sdwa v114, v34, s26 dst_sel:DWORD dst_unused:UNUSED_PAD src0_sel:WORD_1 src1_sel:DWORD
	;; [unrolled: 3-line block ×4, first 2 shown]
	v_fma_f16 v117, v45, s20, v116
	s_movk_i32 s34, 0x3a62
	v_add_f16_e32 v111, v117, v111
	v_mul_f16_sdwa v117, v46, s34 dst_sel:DWORD dst_unused:UNUSED_PAD src0_sel:WORD_1 src1_sel:DWORD
	v_fma_f16 v118, v49, s15, v117
	v_add_f16_e32 v111, v118, v111
	v_mul_f16_sdwa v118, v51, s19 dst_sel:DWORD dst_unused:UNUSED_PAD src0_sel:WORD_1 src1_sel:DWORD
	v_fma_f16 v119, v54, s9, v118
	v_add_f16_e32 v111, v119, v111
	v_mul_f16_e32 v119, 0xb461, v58
	v_fma_f16 v120, v17, s30, v119
	v_mul_f16_e32 v121, 0xbacd, v21
	v_add_f16_sdwa v120, v120, v0 dst_sel:DWORD dst_unused:UNUSED_PAD src0_sel:DWORD src1_sel:WORD_1
	v_fma_f16 v122, v22, s21, v121
	v_add_f16_e32 v120, v122, v120
	v_mul_f16_e32 v122, 0x39e9, v63
	v_fma_f16 v123, v32, s27, v122
	v_add_f16_e32 v120, v123, v120
	v_mul_f16_e32 v123, 0x3722, v65
	;; [unrolled: 3-line block ×6, first 2 shown]
	v_fma_f16 v128, v51, s34, v127
	v_add_f16_e32 v120, v128, v120
	v_mul_f16_sdwa v128, v17, s17 dst_sel:DWORD dst_unused:UNUSED_PAD src0_sel:WORD_1 src1_sel:DWORD
	v_fma_f16 v129, v20, s18, v128
	v_mul_f16_sdwa v130, v22, s33 dst_sel:DWORD dst_unused:UNUSED_PAD src0_sel:WORD_1 src1_sel:DWORD
	v_add_f16_e32 v129, v129, v0
	v_fma_f16 v131, v57, s20, v130
	v_add_f16_e32 v129, v131, v129
	v_mul_f16_sdwa v131, v32, s19 dst_sel:DWORD dst_unused:UNUSED_PAD src0_sel:WORD_1 src1_sel:DWORD
	v_fma_f16 v132, v33, s9, v131
	v_add_f16_e32 v129, v132, v129
	v_mul_f16_sdwa v132, v34, s23 dst_sel:DWORD dst_unused:UNUSED_PAD src0_sel:WORD_1 src1_sel:DWORD
	v_fma_f16 v133, v36, s10, v132
	v_add_f16_e32 v129, v133, v129
	v_mul_f16_sdwa v133, v37, s22 dst_sel:DWORD dst_unused:UNUSED_PAD src0_sel:WORD_1 src1_sel:DWORD
	v_fma_f16 v134, v40, s16, v133
	v_add_f16_e32 v129, v134, v129
	v_mul_f16_sdwa v134, v41, s28 dst_sel:DWORD dst_unused:UNUSED_PAD src0_sel:WORD_1 src1_sel:DWORD
	v_fma_f16 v135, v45, s14, v134
	v_add_f16_e32 v129, v135, v129
	v_mul_f16_sdwa v135, v46, s25 dst_sel:DWORD dst_unused:UNUSED_PAD src0_sel:WORD_1 src1_sel:DWORD
	v_fma_f16 v136, v49, s8, v135
	v_add_f16_e32 v129, v136, v129
	v_mul_f16_sdwa v136, v51, s11 dst_sel:DWORD dst_unused:UNUSED_PAD src0_sel:WORD_1 src1_sel:DWORD
	v_fma_f16 v137, v54, s15, v136
	v_add_f16_e32 v129, v137, v129
	v_mul_f16_e32 v137, 0xb8d2, v58
	v_fma_f16 v138, v17, s34, v137
	v_mul_f16_e32 v139, 0xb461, v21
	v_add_f16_sdwa v138, v138, v0 dst_sel:DWORD dst_unused:UNUSED_PAD src0_sel:DWORD src1_sel:WORD_1
	v_fma_f16 v140, v22, s17, v139
	v_add_f16_e32 v138, v140, v138
	v_mul_f16_e32 v140, 0x3b76, v63
	v_fma_f16 v141, v32, s26, v140
	v_add_f16_e32 v138, v141, v138
	v_mul_f16_e32 v141, 0xbacd, v65
	v_fma_f16 v142, v34, s33, v141
	v_add_f16_e32 v138, v142, v138
	v_mul_f16_e32 v142, 0x2de8, v71
	v_fma_f16 v143, v37, s29, v142
	v_add_f16_e32 v138, v143, v138
	v_mul_f16_e32 v143, 0x39e9, v75
	v_fma_f16 v144, v41, s19, v143
	v_add_f16_e32 v138, v144, v138
	v_mul_f16_e32 v144, 0xbbdd, v77
	v_fma_f16 v145, v46, s31, v144
	v_add_f16_e32 v138, v145, v138
	v_mul_f16_e32 v145, 0x3722, v100
	v_fma_f16 v146, v51, s23, v145
	v_add_f16_e32 v138, v146, v138
	v_mul_f16_sdwa v146, v17, s11 dst_sel:DWORD dst_unused:UNUSED_PAD src0_sel:WORD_1 src1_sel:DWORD
	v_fma_f16 v102, v17, s29, v102
	v_fma_f16 v147, v20, s15, v146
	v_mul_f16_sdwa v148, v22, s30 dst_sel:DWORD dst_unused:UNUSED_PAD src0_sel:WORD_1 src1_sel:DWORD
	v_add_f16_sdwa v102, v102, v0 dst_sel:DWORD dst_unused:UNUSED_PAD src0_sel:DWORD src1_sel:WORD_1
	v_fma_f16 v103, v22, s22, v103
	v_add_f16_e32 v147, v147, v0
	v_fma_f16 v149, v57, s18, v148
	v_add_f16_e32 v102, v103, v102
	;; [unrolled: 2-line block ×3, first 2 shown]
	v_mul_f16_sdwa v149, v32, s25 dst_sel:DWORD dst_unused:UNUSED_PAD src0_sel:WORD_1 src1_sel:DWORD
	v_add_f16_e32 v102, v103, v102
	v_fma_f16 v103, v34, s26, v105
	v_fma_f16 v150, v33, s8, v149
	v_add_f16_e32 v102, v103, v102
	v_fma_f16 v103, v37, s23, v106
	v_add_f16_e32 v147, v150, v147
	v_mul_f16_sdwa v150, v34, s21 dst_sel:DWORD dst_unused:UNUSED_PAD src0_sel:WORD_1 src1_sel:DWORD
	v_add_f16_e32 v102, v103, v102
	v_fma_f16 v103, v41, s21, v107
	v_fma_f16 v151, v36, s20, v150
	v_add_f16_e32 v102, v103, v102
	v_fma_f16 v103, v46, s34, v108
	v_add_f16_e32 v147, v151, v147
	v_mul_f16_sdwa v151, v37, s28 dst_sel:DWORD dst_unused:UNUSED_PAD src0_sel:WORD_1 src1_sel:DWORD
	v_add_f16_e32 v102, v103, v102
	v_fma_f16 v103, v51, s19, v109
	v_fma_f16 v152, v40, s14, v151
	v_add_f16_e32 v102, v103, v102
	v_fma_f16 v103, v20, s14, -v110
	v_add_f16_e32 v147, v152, v147
	v_mul_f16_sdwa v152, v41, s27 dst_sel:DWORD dst_unused:UNUSED_PAD src0_sel:WORD_1 src1_sel:DWORD
	v_add_f16_e32 v103, v103, v0
	v_fma_f16 v104, v57, s16, -v112
	v_fma_f16 v153, v45, s9, v152
	v_add_f16_e32 v103, v104, v103
	v_fma_f16 v104, v33, s18, -v113
	v_add_f16_e32 v147, v153, v147
	v_mul_f16_sdwa v153, v46, s22 dst_sel:DWORD dst_unused:UNUSED_PAD src0_sel:WORD_1 src1_sel:DWORD
	v_add_f16_e32 v103, v104, v103
	v_fma_f16 v104, v36, s8, -v114
	;; [unrolled: 7-line block ×3, first 2 shown]
	v_fma_f16 v155, v54, s10, v154
	v_add_f16_e32 v103, v104, v103
	v_fma_f16 v105, v49, s15, -v117
	v_add_f16_e32 v147, v155, v147
	v_mul_f16_e32 v155, 0xbacd, v58
	v_add_f16_e32 v103, v105, v103
	v_fma_f16 v106, v54, s9, -v118
	v_fma_f16 v156, v17, s33, v155
	v_mul_f16_e32 v157, 0x3722, v21
	v_add_f16_e32 v103, v106, v103
	v_mul_f16_e32 v106, 0x39e9, v58
	v_mul_f16_e32 v58, 0x3722, v58
	v_add_f16_sdwa v156, v156, v0 dst_sel:DWORD dst_unused:UNUSED_PAD src0_sel:DWORD src1_sel:WORD_1
	v_fma_f16 v158, v22, s23, v157
	v_add_f16_e32 v58, v60, v58
	v_mul_f16_e32 v60, 0xb8d2, v21
	v_add_f16_e32 v156, v158, v156
	v_mul_f16_e32 v158, 0x2de8, v63
	v_add_f16_e32 v60, v66, v60
	v_add_f16_sdwa v58, v58, v0 dst_sel:DWORD dst_unused:UNUSED_PAD src0_sel:DWORD src1_sel:WORD_1
	v_fma_f16 v159, v32, s28, v158
	v_add_f16_e32 v58, v60, v58
	v_mul_f16_e32 v60, 0xbbdd, v63
	v_add_f16_e32 v156, v159, v156
	v_mul_f16_e32 v159, 0xb8d2, v65
	v_add_f16_e32 v60, v70, v60
	v_fma_f16 v160, v34, s11, v159
	v_alignbit_b32 v104, v0, v0, 16
	v_add_f16_e32 v58, v60, v58
	v_mul_f16_e32 v60, 0xb461, v65
	v_add_f16_e32 v156, v160, v156
	v_mul_f16_e32 v160, 0x3b76, v71
	v_alignbit_b32 v43, v43, v43, 16
	v_add_f16_e32 v60, v74, v60
	v_pk_add_f16 v1, v1, v104 op_sel:[0,1] op_sel_hi:[1,0]
	v_fma_f16 v161, v37, s26, v160
	v_add_f16_e32 v58, v60, v58
	v_mul_f16_e32 v60, 0x39e9, v71
	v_pk_add_f16 v1, v43, v1
	v_add_f16_e32 v156, v161, v156
	v_mul_f16_e32 v161, 0xbbdd, v75
	v_add_f16_e32 v60, v78, v60
	v_pk_add_f16 v1, v18, v1
	v_fma_f16 v162, v41, s31, v161
	v_add_f16_e32 v58, v60, v58
	v_mul_f16_e32 v60, 0x3b76, v75
	v_pk_add_f16 v1, v15, v1
	v_add_f16_e32 v156, v162, v156
	v_mul_f16_e32 v162, 0x39e9, v77
	v_fma_f16 v155, v17, s21, v155
	v_fma_f16 v137, v17, s11, v137
	;; [unrolled: 1-line block ×3, first 2 shown]
	v_mul_f16_e32 v74, 0x2de8, v21
	v_add_f16_e32 v60, v81, v60
	v_add_f16_e32 v39, v39, v106
	v_pk_add_f16 v1, v16, v1
	v_fma_f16 v163, v46, s27, v162
	v_mul_f16_sdwa v166, v22, s24 dst_sel:DWORD dst_unused:UNUSED_PAD src0_sel:WORD_1 src1_sel:DWORD
	v_add_f16_sdwa v155, v155, v0 dst_sel:DWORD dst_unused:UNUSED_PAD src0_sel:DWORD src1_sel:WORD_1
	v_fma_f16 v157, v22, s24, v157
	v_add_f16_sdwa v137, v137, v0 dst_sel:DWORD dst_unused:UNUSED_PAD src0_sel:DWORD src1_sel:WORD_1
	v_fma_f16 v139, v22, s30, v139
	;; [unrolled: 2-line block ×3, first 2 shown]
	v_mul_f16_e32 v66, 0x3722, v20
	v_mul_f16_e32 v63, 0xb8d2, v63
	v_add_f16_e32 v58, v60, v58
	v_mul_f16_e32 v60, 0x2de8, v77
	v_add_f16_sdwa v39, v39, v0 dst_sel:DWORD dst_unused:UNUSED_PAD src0_sel:DWORD src1_sel:WORD_1
	v_add_f16_e32 v44, v44, v74
	v_pk_add_f16 v1, v13, v1
	v_add_f16_e32 v156, v163, v156
	v_mul_f16_e32 v163, 0xb461, v100
	v_fma_f16 v167, v57, s10, v166
	v_add_f16_e32 v155, v157, v155
	v_fma_f16 v157, v32, s29, v158
	v_fma_f16 v158, v57, s10, -v166
	v_add_f16_e32 v137, v139, v137
	v_fma_f16 v139, v32, s25, v140
	v_fma_f16 v140, v57, s18, -v148
	;; [unrolled: 3-line block ×3, first 2 shown]
	v_mul_f16_e32 v70, 0x39e9, v57
	v_mul_f16_e32 v57, 0xb8d2, v57
	v_add_f16_e32 v60, v87, v60
	v_mul_f16_e32 v65, 0xbbdd, v65
	v_sub_f16_e32 v47, v66, v47
	v_add_f16_e32 v39, v44, v39
	v_add_f16_e32 v44, v50, v63
	v_pk_add_f16 v1, v14, v1
	v_fma_f16 v164, v51, s30, v163
	v_add_f16_e32 v155, v157, v155
	v_fma_f16 v157, v34, s34, v159
	v_add_f16_e32 v137, v139, v137
	;; [unrolled: 2-line block ×3, first 2 shown]
	v_fma_f16 v121, v34, s23, v123
	v_mul_f16_e32 v81, 0xbbdd, v33
	v_add_f16_e32 v58, v60, v58
	v_mul_f16_e32 v60, 0xbacd, v100
	v_mul_f16_e32 v71, 0xbacd, v71
	v_sub_f16_e32 v52, v57, v52
	v_add_f16_e32 v47, v47, v0
	v_add_f16_e32 v39, v44, v39
	;; [unrolled: 1-line block ×3, first 2 shown]
	v_pk_add_f16 v1, v11, v1
	v_add_f16_e32 v156, v164, v156
	v_mul_f16_sdwa v164, v17, s21 dst_sel:DWORD dst_unused:UNUSED_PAD src0_sel:WORD_1 src1_sel:DWORD
	v_add_f16_e32 v155, v157, v155
	v_fma_f16 v157, v37, s25, v160
	v_add_f16_e32 v137, v139, v137
	v_fma_f16 v139, v37, s28, v142
	;; [unrolled: 2-line block ×3, first 2 shown]
	v_add_f16_e32 v60, v101, v60
	v_mul_f16_e32 v101, 0xb461, v36
	v_mul_f16_e32 v75, 0xb461, v75
	v_add_f16_e32 v47, v52, v47
	v_sub_f16_e32 v56, v81, v56
	v_add_f16_e32 v39, v44, v39
	v_add_f16_e32 v44, v62, v71
	v_pk_add_f16 v1, v12, v1
	v_fma_f16 v165, v20, s20, v164
	v_add_f16_e32 v155, v157, v155
	v_fma_f16 v157, v41, s22, v161
	v_add_f16_e32 v137, v139, v137
	;; [unrolled: 2-line block ×3, first 2 shown]
	v_fma_f16 v121, v41, s28, v125
	v_mul_f16_e32 v66, 0x39e9, v40
	v_mul_f16_e32 v77, 0x3722, v77
	v_add_f16_e32 v47, v56, v47
	v_sub_f16_e32 v61, v101, v61
	v_add_f16_e32 v39, v44, v39
	v_add_f16_e32 v44, v67, v75
	v_pk_add_f16 v1, v9, v1
	v_add_f16_e32 v165, v165, v0
	v_add_f16_e32 v155, v157, v155
	v_fma_f16 v157, v46, s19, v162
	v_add_f16_e32 v137, v139, v137
	v_fma_f16 v139, v46, s22, v144
	;; [unrolled: 2-line block ×3, first 2 shown]
	v_mul_f16_e32 v52, 0x3b76, v45
	v_mul_f16_e32 v100, 0x3b76, v100
	v_add_f16_e32 v47, v61, v47
	v_sub_f16_e32 v66, v66, v68
	v_add_f16_e32 v39, v44, v39
	v_add_f16_e32 v44, v73, v77
	v_pk_add_f16 v1, v10, v1
	v_add_f16_e32 v165, v167, v165
	v_mul_f16_sdwa v167, v32, s29 dst_sel:DWORD dst_unused:UNUSED_PAD src0_sel:WORD_1 src1_sel:DWORD
	v_add_f16_e32 v155, v157, v155
	v_fma_f16 v157, v51, s17, v163
	v_add_f16_e32 v137, v139, v137
	v_fma_f16 v139, v51, s24, v145
	;; [unrolled: 2-line block ×3, first 2 shown]
	v_mul_f16_e32 v105, 0x3b76, v20
	v_mul_f16_e32 v56, 0x2de8, v49
	v_add_f16_e32 v47, v66, v47
	v_sub_f16_e32 v52, v52, v72
	v_add_f16_e32 v39, v44, v39
	v_add_f16_e32 v44, v90, v100
	s_mov_b32 s23, 0xffff
	v_pk_add_f16 v1, v7, v1
	v_fma_f16 v168, v33, s14, v167
	v_add_f16_e32 v155, v157, v155
	v_fma_f16 v157, v20, s20, -v164
	v_add_f16_e32 v137, v139, v137
	v_fma_f16 v139, v20, s15, -v146
	v_add_f16_e32 v119, v121, v119
	v_fma_f16 v121, v20, s18, -v128
	v_mul_f16_e32 v61, 0xbacd, v54
	v_add_f16_e32 v47, v52, v47
	v_sub_f16_e32 v52, v56, v76
	v_add_f16_e32 v39, v44, v39
	v_bfi_b32 v44, s23, v79, v91
	v_sub_f16_e32 v35, v105, v35
	v_pk_add_f16 v1, v8, v1
	v_add_f16_e32 v165, v168, v165
	v_mul_f16_sdwa v168, v34, s34 dst_sel:DWORD dst_unused:UNUSED_PAD src0_sel:WORD_1 src1_sel:DWORD
	v_add_f16_e32 v157, v157, v0
	v_add_f16_e32 v139, v139, v0
	;; [unrolled: 1-line block ×3, first 2 shown]
	v_mul_f16_e32 v78, 0x3722, v33
	v_add_f16_e32 v47, v52, v47
	v_sub_f16_e32 v52, v61, v99
	v_bfi_b32 v50, s23, v80, v92
	v_add_f16_e32 v0, v35, v0
	v_sub_f16_e32 v35, v70, v38
	v_pk_add_f16 v1, v2, v1
	v_pk_add_f16 v2, v44, v104
	v_fma_f16 v169, v36, s15, v168
	v_mul_f16_e32 v87, 0x2de8, v36
	v_add_f16_e32 v47, v52, v47
	v_bfi_b32 v52, s23, v82, v93
	v_add_f16_e32 v0, v35, v0
	v_sub_f16_e32 v35, v78, v42
	v_pk_add_f16 v2, v50, v2
	v_add_f16_e32 v165, v169, v165
	v_mul_f16_sdwa v169, v37, s25 dst_sel:DWORD dst_unused:UNUSED_PAD src0_sel:WORD_1 src1_sel:DWORD
	v_add_f16_e32 v58, v60, v58
	v_mul_f16_e32 v60, 0xb461, v40
	v_bfi_b32 v55, s23, v83, v94
	v_add_f16_e32 v0, v35, v0
	v_sub_f16_e32 v35, v87, v48
	v_pk_add_f16 v2, v52, v2
	v_fma_f16 v170, v40, s8, v169
	v_add_f16_e32 v139, v140, v139
	v_fma_f16 v140, v33, s8, -v149
	v_add_f16_e32 v121, v122, v121
	v_fma_f16 v122, v33, s9, -v131
	v_mul_f16_e32 v57, 0xb8d2, v45
	v_bfi_b32 v56, s23, v84, v95
	v_add_f16_e32 v0, v35, v0
	v_sub_f16_e32 v35, v60, v53
	v_pk_add_f16 v2, v55, v2
	v_add_f16_e32 v165, v170, v165
	v_mul_f16_sdwa v170, v41, s22 dst_sel:DWORD dst_unused:UNUSED_PAD src0_sel:WORD_1 src1_sel:DWORD
	v_add_f16_e32 v157, v158, v157
	v_fma_f16 v158, v33, s14, -v167
	v_add_f16_e32 v139, v140, v139
	v_fma_f16 v140, v36, s20, -v150
	;; [unrolled: 2-line block ×3, first 2 shown]
	v_mul_f16_e32 v81, 0xbacd, v49
	v_bfi_b32 v61, s23, v85, v96
	v_add_f16_e32 v0, v35, v0
	v_sub_f16_e32 v35, v57, v59
	v_pk_add_f16 v2, v56, v2
	v_fma_f16 v171, v45, s16, v170
	v_add_f16_e32 v157, v158, v157
	v_fma_f16 v158, v36, s15, -v168
	v_add_f16_e32 v139, v140, v139
	v_fma_f16 v140, v40, s14, -v151
	;; [unrolled: 2-line block ×3, first 2 shown]
	v_mul_f16_e32 v101, 0xbbdd, v54
	v_bfi_b32 v62, s23, v86, v97
	v_add_f16_e32 v0, v35, v0
	v_sub_f16_e32 v35, v81, v64
	v_pk_add_f16 v2, v61, v2
	v_add_f16_e32 v165, v171, v165
	v_mul_f16_sdwa v171, v46, s19 dst_sel:DWORD dst_unused:UNUSED_PAD src0_sel:WORD_1 src1_sel:DWORD
	v_add_f16_e32 v157, v158, v157
	v_fma_f16 v158, v40, s8, -v169
	v_add_f16_e32 v139, v140, v139
	v_fma_f16 v140, v45, s9, -v152
	;; [unrolled: 2-line block ×3, first 2 shown]
	v_bfi_b32 v63, s23, v89, v98
	v_add_f16_e32 v0, v35, v0
	v_sub_f16_e32 v35, v101, v69
	v_pk_add_f16 v2, v62, v2
	v_fma_f16 v172, v49, s9, v171
	v_add_f16_e32 v157, v158, v157
	v_fma_f16 v158, v45, s16, -v170
	v_add_f16_e32 v139, v140, v139
	v_fma_f16 v140, v49, s16, -v153
	;; [unrolled: 2-line block ×3, first 2 shown]
	v_add_f16_e32 v0, v35, v0
	v_pk_add_f16 v2, v63, v2
	v_add_f16_e32 v165, v172, v165
	v_mul_f16_sdwa v172, v51, s17 dst_sel:DWORD dst_unused:UNUSED_PAD src0_sel:WORD_1 src1_sel:DWORD
	v_add_f16_e32 v157, v158, v157
	v_fma_f16 v158, v49, s9, -v171
	v_add_f16_e32 v139, v140, v139
	v_fma_f16 v140, v54, s10, -v154
	;; [unrolled: 2-line block ×3, first 2 shown]
	v_add_lshl_u32 v15, v25, v27, 2
	v_pk_add_f16 v1, v3, v1
	v_alignbit_b32 v3, v39, v2, 16
	v_pack_b32_f16 v0, v0, v2
	v_add_f16_e32 v157, v158, v157
	v_fma_f16 v158, v54, s18, -v172
	v_add_f16_e32 v139, v140, v139
	v_add_f16_e32 v121, v122, v121
	ds_write2_b32 v15, v0, v3 offset0:1 offset1:2
	v_pack_b32_f16 v0, v47, v58
	v_pack_b32_f16 v2, v103, v102
	v_add_f16_e32 v157, v158, v157
	ds_write2_b32 v15, v0, v2 offset0:3 offset1:4
	v_pack_b32_f16 v0, v139, v137
	v_pack_b32_f16 v2, v121, v119
	v_pk_add_f16 v1, v19, v1
	ds_write2_b32 v15, v2, v0 offset0:5 offset1:6
	v_pack_b32_f16 v0, v157, v155
	ds_write2_b32 v15, v1, v0 offset1:7
	v_pk_mul_f16 v0, v20, s16 op_sel_hi:[1,0]
	v_pk_fma_f16 v1, v17, s22, v0 op_sel:[0,0,1] op_sel_hi:[1,0,0] neg_lo:[1,0,0] neg_hi:[1,0,0]
	v_pk_mul_f16 v2, v22, s26 op_sel_hi:[1,0]
	v_pk_add_f16 v1, v1, v104
	v_pk_fma_f16 v3, v21, s8, v2 op_sel_hi:[1,0,1] neg_lo:[0,0,1] neg_hi:[0,0,1]
	v_pk_add_f16 v1, v3, v1
	v_pk_mul_f16 v3, v33, s20 op_sel_hi:[1,0]
	v_pk_fma_f16 v7, v32, s21, v3 op_sel:[0,0,1] op_sel_hi:[1,0,0] neg_lo:[1,0,0] neg_hi:[1,0,0]
	v_pk_add_f16 v1, v7, v1
	v_pk_mul_f16 v7, v36, s9 op_sel_hi:[1,0]
	v_pk_fma_f16 v8, v34, s19, v7 op_sel:[0,0,1] op_sel_hi:[1,0,0] neg_lo:[1,0,0] neg_hi:[1,0,0]
	v_pk_add_f16 v1, v8, v1
	v_pk_mul_f16 v8, v40, s15 op_sel_hi:[1,0]
	v_pk_fma_f16 v0, v17, s22, v0 op_sel:[0,0,1] op_sel_hi:[1,0,0]
	v_pk_fma_f16 v9, v37, s11, v8 op_sel:[0,0,1] op_sel_hi:[1,0,0] neg_lo:[1,0,0] neg_hi:[1,0,0]
	v_pk_add_f16 v0, v0, v104
	v_pk_fma_f16 v2, v21, s8, v2 op_sel_hi:[1,0,1]
	v_pk_add_f16 v1, v9, v1
	v_pk_mul_f16 v9, v45, s10 op_sel_hi:[1,0]
	v_pk_add_f16 v0, v2, v0
	v_pk_fma_f16 v2, v32, s21, v3 op_sel:[0,0,1] op_sel_hi:[1,0,0]
	v_pk_fma_f16 v10, v41, s24, v9 op_sel:[0,0,1] op_sel_hi:[1,0,0] neg_lo:[1,0,0] neg_hi:[1,0,0]
	v_pk_add_f16 v0, v2, v0
	v_pk_fma_f16 v2, v34, s19, v7 op_sel:[0,0,1] op_sel_hi:[1,0,0]
	v_pk_add_f16 v1, v10, v1
	v_pk_mul_f16 v10, v49, s18 op_sel_hi:[1,0]
	v_pk_add_f16 v0, v2, v0
	v_pk_fma_f16 v2, v37, s11, v8 op_sel:[0,0,1] op_sel_hi:[1,0,0]
	v_pk_fma_f16 v11, v46, s17, v10 op_sel:[0,0,1] op_sel_hi:[1,0,0] neg_lo:[1,0,0] neg_hi:[1,0,0]
	v_pk_add_f16 v0, v2, v0
	v_pk_fma_f16 v2, v41, s24, v9 op_sel:[0,0,1] op_sel_hi:[1,0,0]
	;; [unrolled: 7-line block ×3, first 2 shown]
	v_fma_f16 v173, v54, s18, v172
	v_pk_add_f16 v1, v12, v1
	v_pk_add_f16 v0, v2, v0
	v_add_f16_e32 v165, v173, v165
	v_alignbit_b32 v2, v1, v0, 16
	v_alignbit_b32 v0, v0, v1, 16
	ds_write2_b32 v15, v0, v2 offset0:8 offset1:9
	v_pack_b32_f16 v0, v147, v138
	v_pack_b32_f16 v1, v165, v156
	ds_write2_b32 v15, v1, v0 offset0:10 offset1:11
	v_pack_b32_f16 v0, v111, v88
	v_pack_b32_f16 v1, v129, v120
	s_mov_b32 s8, 0x5040100
	ds_write2_b32 v15, v1, v0 offset0:12 offset1:13
	v_perm_b32 v0, v29, v6, s8
	v_perm_b32 v1, v30, v5, s8
	ds_write2_b32 v15, v1, v0 offset0:14 offset1:15
	v_perm_b32 v0, v31, v28, s8
	ds_write_b32 v15, v0 offset:64
.LBB0_7:
	s_or_b64 exec, exec, s[4:5]
	v_mul_u32_u24_e32 v0, 6, v23
	v_lshlrev_b32_e32 v33, 2, v0
	s_load_dwordx4 s[8:11], s[2:3], 0x0
	s_waitcnt lgkmcnt(0)
	; wave barrier
	s_waitcnt lgkmcnt(0)
	global_load_dwordx4 v[0:3], v33, s[0:1]
	global_load_dwordx2 v[7:8], v33, s[0:1] offset:16
	v_add_lshl_u32 v32, v25, v23, 2
	ds_read2_b32 v[9:10], v32 offset1:17
	ds_read2_b32 v[11:12], v32 offset0:34 offset1:51
	ds_read2_b32 v[13:14], v32 offset0:68 offset1:85
	;; [unrolled: 1-line block ×6, first 2 shown]
	s_waitcnt lgkmcnt(5)
	v_lshrrev_b32_e32 v35, 16, v11
	s_waitcnt lgkmcnt(4)
	v_lshrrev_b32_e32 v36, 16, v13
	;; [unrolled: 2-line block ×5, first 2 shown]
	v_lshrrev_b32_e32 v38, 16, v17
	v_mov_b32_e32 v34, s1
	v_add_co_u32_e64 v33, s[0:1], s0, v33
	v_addc_co_u32_e64 v34, s[0:1], 0, v34, s[0:1]
	v_lshrrev_b32_e32 v41, 16, v12
	v_lshrrev_b32_e32 v42, 16, v14
	;; [unrolled: 1-line block ×4, first 2 shown]
	s_movk_i32 s0, 0x2b26
	s_movk_i32 s1, 0x3b00
	s_mov_b32 s2, 0xbcab
	s_movk_i32 s3, 0x39e0
	s_mov_b32 s4, 0xb9e0
	;; [unrolled: 2-line block ×3, first 2 shown]
	v_lshrrev_b32_e32 v43, 16, v16
	v_lshrrev_b32_e32 v44, 16, v18
	s_movk_i32 s15, 0x370e
	s_waitcnt lgkmcnt(0)
	; wave barrier
	s_waitcnt vmcnt(1)
	v_mul_f16_sdwa v47, v35, v0 dst_sel:DWORD dst_unused:UNUSED_PAD src0_sel:DWORD src1_sel:WORD_1
	v_mul_f16_sdwa v48, v11, v0 dst_sel:DWORD dst_unused:UNUSED_PAD src0_sel:DWORD src1_sel:WORD_1
	v_mul_f16_sdwa v49, v36, v1 dst_sel:DWORD dst_unused:UNUSED_PAD src0_sel:DWORD src1_sel:WORD_1
	v_mul_f16_sdwa v50, v13, v1 dst_sel:DWORD dst_unused:UNUSED_PAD src0_sel:DWORD src1_sel:WORD_1
	s_waitcnt vmcnt(0)
	v_mul_f16_sdwa v55, v39, v7 dst_sel:DWORD dst_unused:UNUSED_PAD src0_sel:DWORD src1_sel:WORD_1
	v_mul_f16_sdwa v56, v19, v7 dst_sel:DWORD dst_unused:UNUSED_PAD src0_sel:DWORD src1_sel:WORD_1
	;; [unrolled: 1-line block ×8, first 2 shown]
	v_fma_f16 v11, v11, v0, -v47
	v_fma_f16 v35, v35, v0, v48
	v_fma_f16 v13, v13, v1, -v49
	v_fma_f16 v36, v36, v1, v50
	;; [unrolled: 2-line block ×6, first 2 shown]
	v_add_f16_e32 v47, v11, v21
	v_add_f16_e32 v48, v35, v40
	v_sub_f16_e32 v11, v11, v21
	v_sub_f16_e32 v21, v35, v40
	v_add_f16_e32 v35, v13, v19
	v_add_f16_e32 v40, v36, v39
	v_sub_f16_e32 v13, v13, v19
	v_sub_f16_e32 v19, v36, v39
	;; [unrolled: 4-line block ×4, first 2 shown]
	v_sub_f16_e32 v47, v47, v36
	v_sub_f16_e32 v48, v48, v39
	;; [unrolled: 1-line block ×4, first 2 shown]
	v_add_f16_e32 v51, v15, v13
	v_add_f16_e32 v52, v17, v19
	v_sub_f16_e32 v53, v15, v13
	v_sub_f16_e32 v54, v17, v19
	;; [unrolled: 1-line block ×4, first 2 shown]
	v_add_f16_e32 v36, v36, v37
	v_add_f16_e32 v37, v39, v38
	v_sub_f16_e32 v15, v11, v15
	v_sub_f16_e32 v17, v21, v17
	v_add_f16_e32 v11, v51, v11
	v_add_f16_e32 v21, v52, v21
	;; [unrolled: 1-line block ×3, first 2 shown]
	v_add_f16_sdwa v9, v9, v37 dst_sel:DWORD dst_unused:UNUSED_PAD src0_sel:WORD_1 src1_sel:DWORD
	v_mul_f16_e32 v39, 0x3a52, v47
	v_mul_f16_e32 v47, 0x3a52, v48
	;; [unrolled: 1-line block ×8, first 2 shown]
	v_mul_f16_sdwa v59, v41, v0 dst_sel:DWORD dst_unused:UNUSED_PAD src0_sel:DWORD src1_sel:WORD_1
	v_mul_f16_sdwa v60, v12, v0 dst_sel:DWORD dst_unused:UNUSED_PAD src0_sel:DWORD src1_sel:WORD_1
	;; [unrolled: 1-line block ×8, first 2 shown]
	v_fma_f16 v36, v36, s2, v38
	v_fma_f16 v37, v37, s2, v9
	;; [unrolled: 1-line block ×4, first 2 shown]
	v_fma_f16 v48, v49, s3, -v48
	v_fma_f16 v51, v50, s3, -v51
	;; [unrolled: 1-line block ×4, first 2 shown]
	v_fma_f16 v49, v15, s5, v52
	v_fma_f16 v50, v17, s5, v53
	v_fma_f16 v13, v13, s1, -v52
	v_fma_f16 v15, v15, s14, -v54
	v_fma_f16 v17, v17, s14, -v55
	v_mul_f16_sdwa v63, v43, v2 dst_sel:DWORD dst_unused:UNUSED_PAD src0_sel:DWORD src1_sel:WORD_1
	v_mul_f16_sdwa v64, v16, v2 dst_sel:DWORD dst_unused:UNUSED_PAD src0_sel:DWORD src1_sel:WORD_1
	;; [unrolled: 1-line block ×4, first 2 shown]
	v_fma_f16 v12, v12, v0, -v59
	v_fma_f16 v41, v41, v0, v60
	v_fma_f16 v14, v14, v1, -v61
	v_fma_f16 v42, v42, v1, v62
	v_fma_f16 v20, v20, v7, -v67
	v_fma_f16 v45, v45, v7, v68
	v_fma_f16 v22, v22, v8, -v69
	v_fma_f16 v46, v46, v8, v70
	v_fma_f16 v19, v19, s1, -v53
	v_add_f16_e32 v35, v35, v36
	v_add_f16_e32 v40, v40, v37
	;; [unrolled: 1-line block ×6, first 2 shown]
	v_fma_f16 v39, v11, s15, v49
	v_fma_f16 v13, v11, s15, v13
	;; [unrolled: 1-line block ×4, first 2 shown]
	v_fma_f16 v16, v16, v2, -v63
	v_fma_f16 v43, v43, v2, v64
	v_fma_f16 v18, v18, v3, -v65
	v_fma_f16 v44, v44, v3, v66
	v_fma_f16 v47, v21, s15, v50
	;; [unrolled: 1-line block ×3, first 2 shown]
	v_sub_f16_e32 v21, v40, v39
	v_add_f16_e32 v49, v15, v36
	v_sub_f16_e32 v50, v37, v11
	v_sub_f16_e32 v15, v36, v15
	v_add_f16_e32 v11, v11, v37
	v_add_f16_e32 v36, v39, v40
	;; [unrolled: 1-line block ×4, first 2 shown]
	v_sub_f16_e32 v12, v12, v22
	v_sub_f16_e32 v22, v41, v46
	v_add_f16_e32 v40, v14, v20
	v_add_f16_e32 v41, v42, v45
	v_sub_f16_e32 v14, v14, v20
	v_sub_f16_e32 v20, v42, v45
	v_add_f16_e32 v42, v16, v18
	v_add_f16_e32 v45, v43, v44
	;; [unrolled: 4-line block ×3, first 2 shown]
	v_add_f16_e32 v17, v47, v35
	v_sub_f16_e32 v52, v48, v19
	v_add_f16_e32 v53, v13, v51
	v_add_f16_e32 v19, v19, v48
	v_sub_f16_e32 v13, v51, v13
	v_sub_f16_e32 v35, v35, v47
	;; [unrolled: 1-line block ×8, first 2 shown]
	v_add_f16_e32 v48, v16, v14
	v_add_f16_e32 v51, v18, v20
	v_sub_f16_e32 v54, v16, v14
	v_sub_f16_e32 v55, v18, v20
	;; [unrolled: 1-line block ×4, first 2 shown]
	v_add_f16_e32 v42, v42, v43
	v_add_f16_e32 v43, v45, v44
	v_sub_f16_e32 v16, v12, v16
	v_sub_f16_e32 v18, v22, v18
	v_add_f16_e32 v12, v48, v12
	v_add_f16_e32 v22, v51, v22
	;; [unrolled: 1-line block ×3, first 2 shown]
	v_add_f16_sdwa v10, v10, v43 dst_sel:DWORD dst_unused:UNUSED_PAD src0_sel:WORD_1 src1_sel:DWORD
	v_mul_f16_e32 v37, 0x3a52, v37
	v_mul_f16_e32 v39, 0x3a52, v39
	;; [unrolled: 1-line block ×8, first 2 shown]
	v_pack_b32_f16 v9, v38, v9
	v_pack_b32_f16 v17, v17, v21
	v_fma_f16 v42, v42, s2, v44
	v_fma_f16 v43, v43, s2, v10
	v_fma_f16 v40, v40, s0, v37
	v_fma_f16 v41, v41, s0, v39
	v_fma_f16 v45, v46, s3, -v45
	v_fma_f16 v48, v47, s3, -v48
	;; [unrolled: 1-line block ×4, first 2 shown]
	v_fma_f16 v46, v16, s5, v51
	v_fma_f16 v47, v18, s5, v54
	v_fma_f16 v14, v14, s1, -v51
	v_fma_f16 v16, v16, s14, -v55
	;; [unrolled: 1-line block ×3, first 2 shown]
	ds_write2_b32 v32, v9, v17 offset1:17
	v_pack_b32_f16 v9, v49, v50
	v_pack_b32_f16 v17, v52, v53
	v_fma_f16 v20, v20, s1, -v54
	v_add_f16_e32 v40, v40, v42
	v_add_f16_e32 v41, v41, v43
	;; [unrolled: 1-line block ×6, first 2 shown]
	v_fma_f16 v42, v12, s15, v46
	v_fma_f16 v43, v22, s15, v47
	;; [unrolled: 1-line block ×5, first 2 shown]
	ds_write2_b32 v32, v9, v17 offset0:34 offset1:51
	v_pack_b32_f16 v9, v19, v13
	v_pack_b32_f16 v11, v15, v11
	v_fma_f16 v20, v22, s15, v20
	v_add_f16_e32 v18, v43, v40
	v_sub_f16_e32 v22, v41, v42
	v_add_f16_e32 v46, v16, v37
	v_sub_f16_e32 v47, v39, v12
	ds_write2_b32 v32, v9, v11 offset0:68 offset1:85
	v_pack_b32_f16 v9, v35, v36
	v_pack_b32_f16 v10, v44, v10
	v_sub_f16_e32 v51, v45, v20
	v_add_f16_e32 v54, v14, v48
	v_add_f16_e32 v20, v20, v45
	v_sub_f16_e32 v14, v48, v14
	ds_write2_b32 v32, v9, v10 offset0:102 offset1:119
	v_pack_b32_f16 v9, v18, v22
	v_pack_b32_f16 v10, v46, v47
	v_sub_f16_e32 v16, v37, v16
	v_add_f16_e32 v12, v12, v39
	v_sub_f16_e32 v37, v40, v43
	v_add_f16_e32 v39, v42, v41
	ds_write2_b32 v32, v9, v10 offset0:136 offset1:153
	v_pack_b32_f16 v9, v51, v54
	v_pack_b32_f16 v10, v20, v14
	ds_write2_b32 v32, v9, v10 offset0:170 offset1:187
	v_pack_b32_f16 v9, v16, v12
	v_pack_b32_f16 v10, v37, v39
	ds_write2_b32 v32, v9, v10 offset0:204 offset1:221
	v_mul_i32_i24_e32 v9, 0xffffffec, v23
	v_mul_hi_i32_i24_e32 v10, 0xffffffec, v23
	v_add_co_u32_e64 v9, s[0:1], v33, v9
	v_addc_co_u32_e64 v10, s[0:1], v34, v10, s[0:1]
	s_waitcnt lgkmcnt(0)
	; wave barrier
	s_waitcnt lgkmcnt(0)
	global_load_dword v33, v[9:10], off offset:408
	global_load_dword v34, v[9:10], off offset:476
	;; [unrolled: 1-line block ×7, first 2 shown]
	ds_read2_b32 v[12:13], v32 offset1:17
	ds_read2_b32 v[21:22], v32 offset0:102 offset1:119
	ds_read2_b32 v[9:10], v32 offset0:136 offset1:153
	;; [unrolled: 1-line block ×6, first 2 shown]
	s_waitcnt lgkmcnt(5)
	v_lshrrev_b32_e32 v20, 16, v22
	s_waitcnt lgkmcnt(4)
	v_lshrrev_b32_e32 v41, 16, v9
	v_lshrrev_b32_e32 v45, 16, v10
	s_waitcnt lgkmcnt(2)
	v_lshrrev_b32_e32 v47, 16, v14
	;; [unrolled: 3-line block ×3, first 2 shown]
	v_lshrrev_b32_e32 v50, 16, v19
	v_lshrrev_b32_e32 v11, 16, v12
	;; [unrolled: 1-line block ×8, first 2 shown]
	s_waitcnt vmcnt(6)
	v_mul_f16_sdwa v51, v20, v33 dst_sel:DWORD dst_unused:UNUSED_PAD src0_sel:DWORD src1_sel:WORD_1
	v_fma_f16 v51, v22, v33, -v51
	v_mul_f16_sdwa v22, v22, v33 dst_sel:DWORD dst_unused:UNUSED_PAD src0_sel:DWORD src1_sel:WORD_1
	v_fma_f16 v20, v20, v33, v22
	s_waitcnt vmcnt(5)
	v_mul_f16_sdwa v22, v41, v34 dst_sel:DWORD dst_unused:UNUSED_PAD src0_sel:DWORD src1_sel:WORD_1
	v_fma_f16 v22, v9, v34, -v22
	v_mul_f16_sdwa v9, v9, v34 dst_sel:DWORD dst_unused:UNUSED_PAD src0_sel:DWORD src1_sel:WORD_1
	v_fma_f16 v52, v41, v34, v9
	;; [unrolled: 5-line block ×6, first 2 shown]
	s_waitcnt vmcnt(0)
	v_mul_f16_sdwa v9, v50, v39 dst_sel:DWORD dst_unused:UNUSED_PAD src0_sel:DWORD src1_sel:WORD_1
	v_fma_f16 v63, v19, v39, -v9
	v_mul_f16_sdwa v9, v19, v39 dst_sel:DWORD dst_unused:UNUSED_PAD src0_sel:DWORD src1_sel:WORD_1
	v_sub_f16_e32 v10, v12, v51
	v_fma_f16 v64, v50, v39, v9
	v_sub_f16_e32 v47, v11, v20
	v_fma_f16 v9, v12, 2.0, -v10
	v_sub_f16_e32 v12, v13, v22
	v_sub_f16_e32 v49, v40, v52
	;; [unrolled: 1-line block ×3, first 2 shown]
	v_fma_f16 v41, v11, 2.0, -v47
	v_fma_f16 v11, v13, 2.0, -v12
	v_fma_f16 v48, v40, 2.0, -v49
	v_sub_f16_e32 v51, v44, v45
	v_fma_f16 v13, v16, 2.0, -v14
	v_sub_f16_e32 v16, v17, v54
	v_sub_f16_e32 v18, v42, v58
	v_fma_f16 v50, v44, 2.0, -v51
	v_fma_f16 v15, v17, 2.0, -v16
	;; [unrolled: 1-line block ×3, first 2 shown]
	v_sub_f16_e32 v20, v43, v61
	v_lshl_add_u32 v40, v23, 2, v26
	v_pack_b32_f16 v42, v9, v41
	v_pack_b32_f16 v44, v11, v48
	v_fma_f16 v19, v43, 2.0, -v20
	v_pack_b32_f16 v43, v10, v47
	ds_write2_b32 v40, v42, v44 offset1:17
	v_pack_b32_f16 v42, v12, v49
	v_sub_f16_e32 v53, v46, v57
	ds_write2_b32 v40, v43, v42 offset0:119 offset1:136
	v_pack_b32_f16 v42, v13, v50
	v_fma_f16 v52, v46, 2.0, -v53
	ds_write_b32 v40, v42 offset:136
	v_add_u32_e32 v42, v24, v26
	v_pack_b32_f16 v43, v14, v51
	v_sub_f16_e32 v54, v55, v60
	ds_write_b32 v42, v43 offset:612
	v_pack_b32_f16 v43, v15, v52
	v_fma_f16 v55, v55, 2.0, -v54
	ds_write_b32 v40, v43 offset:204
	v_pack_b32_f16 v43, v16, v53
	v_sub_f16_e32 v57, v56, v62
	ds_write_b32 v42, v43 offset:680
	v_pack_b32_f16 v43, v17, v55
	v_fma_f16 v56, v56, 2.0, -v57
	ds_write_b32 v40, v43 offset:272
	v_pack_b32_f16 v43, v18, v54
	v_sub_f16_e32 v22, v21, v63
	v_sub_f16_e32 v58, v59, v64
	ds_write_b32 v42, v43 offset:748
	v_pack_b32_f16 v43, v19, v56
	v_fma_f16 v21, v21, 2.0, -v22
	v_fma_f16 v59, v59, 2.0, -v58
	ds_write_b32 v40, v43 offset:340
	v_pack_b32_f16 v43, v20, v57
	ds_write_b32 v42, v43 offset:816
	v_pack_b32_f16 v43, v21, v59
	;; [unrolled: 2-line block ×3, first 2 shown]
	ds_write_b32 v42, v43 offset:884
	s_waitcnt lgkmcnt(0)
	; wave barrier
	s_waitcnt lgkmcnt(0)
	s_and_saveexec_b64 s[0:1], vcc
	s_cbranch_execz .LBB0_9
; %bb.8:
	global_load_dword v68, v24, s[6:7] offset:952
	s_add_u32 s2, s6, 0x3b8
	s_addc_u32 s3, s7, 0
	global_load_dword v69, v24, s[2:3] offset:56
	global_load_dword v70, v24, s[2:3] offset:112
	global_load_dword v71, v24, s[2:3] offset:168
	global_load_dword v72, v24, s[2:3] offset:224
	global_load_dword v73, v24, s[2:3] offset:280
	global_load_dword v74, v24, s[2:3] offset:336
	global_load_dword v75, v24, s[2:3] offset:392
	global_load_dword v76, v24, s[2:3] offset:448
	global_load_dword v77, v24, s[2:3] offset:504
	global_load_dword v78, v24, s[2:3] offset:560
	ds_read2_b32 v[43:44], v40 offset1:14
	ds_read2_b32 v[45:46], v40 offset0:28 offset1:42
	ds_read2_b32 v[60:61], v40 offset0:56 offset1:70
	;; [unrolled: 1-line block ×3, first 2 shown]
	global_load_dword v79, v24, s[2:3] offset:616
	ds_read2_b32 v[64:65], v40 offset0:112 offset1:126
	ds_read2_b32 v[66:67], v40 offset0:140 offset1:154
	global_load_dword v80, v24, s[2:3] offset:672
	global_load_dword v81, v24, s[2:3] offset:728
	;; [unrolled: 1-line block ×5, first 2 shown]
	s_waitcnt lgkmcnt(5)
	v_lshrrev_b32_e32 v85, 16, v43
	v_lshrrev_b32_e32 v86, 16, v44
	s_waitcnt lgkmcnt(4)
	v_lshrrev_b32_e32 v87, 16, v45
	v_lshrrev_b32_e32 v88, 16, v46
	;; [unrolled: 3-line block ×5, first 2 shown]
	s_waitcnt vmcnt(13)
	v_mul_f16_sdwa v97, v88, v71 dst_sel:DWORD dst_unused:UNUSED_PAD src0_sel:DWORD src1_sel:WORD_1
	v_mul_f16_sdwa v98, v46, v71 dst_sel:DWORD dst_unused:UNUSED_PAD src0_sel:DWORD src1_sel:WORD_1
	s_waitcnt vmcnt(12)
	v_mul_f16_sdwa v99, v89, v72 dst_sel:DWORD dst_unused:UNUSED_PAD src0_sel:DWORD src1_sel:WORD_1
	v_mul_f16_sdwa v100, v60, v72 dst_sel:DWORD dst_unused:UNUSED_PAD src0_sel:DWORD src1_sel:WORD_1
	;; [unrolled: 1-line block ×4, first 2 shown]
	v_fma_f16 v43, v43, v68, -v95
	v_fma_f16 v68, v85, v68, v96
	v_pack_b32_f16 v43, v43, v68
	v_mul_f16_sdwa v68, v86, v69 dst_sel:DWORD dst_unused:UNUSED_PAD src0_sel:DWORD src1_sel:WORD_1
	v_mul_f16_sdwa v85, v44, v69 dst_sel:DWORD dst_unused:UNUSED_PAD src0_sel:DWORD src1_sel:WORD_1
	v_mul_f16_sdwa v95, v87, v70 dst_sel:DWORD dst_unused:UNUSED_PAD src0_sel:DWORD src1_sel:WORD_1
	v_mul_f16_sdwa v96, v45, v70 dst_sel:DWORD dst_unused:UNUSED_PAD src0_sel:DWORD src1_sel:WORD_1
	s_waitcnt vmcnt(11)
	v_mul_f16_sdwa v101, v90, v73 dst_sel:DWORD dst_unused:UNUSED_PAD src0_sel:DWORD src1_sel:WORD_1
	v_mul_f16_sdwa v102, v61, v73 dst_sel:DWORD dst_unused:UNUSED_PAD src0_sel:DWORD src1_sel:WORD_1
	s_waitcnt vmcnt(10)
	v_mul_f16_sdwa v103, v91, v74 dst_sel:DWORD dst_unused:UNUSED_PAD src0_sel:DWORD src1_sel:WORD_1
	v_mul_f16_sdwa v104, v62, v74 dst_sel:DWORD dst_unused:UNUSED_PAD src0_sel:DWORD src1_sel:WORD_1
	;; [unrolled: 3-line block ×3, first 2 shown]
	v_fma_f16 v44, v44, v69, -v68
	v_fma_f16 v68, v86, v69, v85
	v_fma_f16 v45, v45, v70, -v95
	v_fma_f16 v69, v87, v70, v96
	;; [unrolled: 2-line block ×7, first 2 shown]
	v_pack_b32_f16 v44, v44, v68
	s_waitcnt vmcnt(8)
	v_mul_f16_sdwa v107, v93, v76 dst_sel:DWORD dst_unused:UNUSED_PAD src0_sel:DWORD src1_sel:WORD_1
	v_mul_f16_sdwa v108, v64, v76 dst_sel:DWORD dst_unused:UNUSED_PAD src0_sel:DWORD src1_sel:WORD_1
	s_waitcnt vmcnt(7)
	v_mul_f16_sdwa v109, v94, v77 dst_sel:DWORD dst_unused:UNUSED_PAD src0_sel:DWORD src1_sel:WORD_1
	v_pack_b32_f16 v45, v45, v69
	v_pack_b32_f16 v46, v46, v70
	;; [unrolled: 1-line block ×6, first 2 shown]
	ds_write2_b32 v40, v43, v44 offset1:14
	ds_write2_b32 v40, v45, v46 offset0:28 offset1:42
	ds_write2_b32 v40, v60, v61 offset0:56 offset1:70
	;; [unrolled: 1-line block ×3, first 2 shown]
	v_mul_f16_sdwa v43, v65, v77 dst_sel:DWORD dst_unused:UNUSED_PAD src0_sel:DWORD src1_sel:WORD_1
	v_fma_f16 v64, v64, v76, -v107
	v_fma_f16 v75, v93, v76, v108
	v_fma_f16 v76, v65, v77, -v109
	v_fma_f16 v43, v94, v77, v43
	v_pack_b32_f16 v64, v64, v75
	v_pack_b32_f16 v43, v76, v43
	ds_write2_b32 v40, v64, v43 offset0:112 offset1:126
	s_waitcnt lgkmcnt(5)
	v_lshrrev_b32_e32 v43, 16, v66
	s_waitcnt vmcnt(6)
	v_mul_f16_sdwa v44, v43, v78 dst_sel:DWORD dst_unused:UNUSED_PAD src0_sel:DWORD src1_sel:WORD_1
	v_mul_f16_sdwa v45, v66, v78 dst_sel:DWORD dst_unused:UNUSED_PAD src0_sel:DWORD src1_sel:WORD_1
	v_fma_f16 v44, v66, v78, -v44
	v_fma_f16 v43, v43, v78, v45
	v_lshrrev_b32_e32 v46, 16, v67
	v_pack_b32_f16 v45, v44, v43
	s_waitcnt vmcnt(5)
	v_mul_f16_sdwa v43, v46, v79 dst_sel:DWORD dst_unused:UNUSED_PAD src0_sel:DWORD src1_sel:WORD_1
	v_fma_f16 v60, v67, v79, -v43
	ds_read2_b32 v[43:44], v40 offset0:168 offset1:182
	v_mul_f16_sdwa v61, v67, v79 dst_sel:DWORD dst_unused:UNUSED_PAD src0_sel:DWORD src1_sel:WORD_1
	v_fma_f16 v46, v46, v79, v61
	v_pack_b32_f16 v46, v60, v46
	ds_write2_b32 v40, v45, v46 offset0:140 offset1:154
	s_waitcnt lgkmcnt(1)
	v_lshrrev_b32_e32 v45, 16, v43
	s_waitcnt vmcnt(4)
	v_mul_f16_sdwa v46, v45, v80 dst_sel:DWORD dst_unused:UNUSED_PAD src0_sel:DWORD src1_sel:WORD_1
	v_fma_f16 v46, v43, v80, -v46
	v_mul_f16_sdwa v43, v43, v80 dst_sel:DWORD dst_unused:UNUSED_PAD src0_sel:DWORD src1_sel:WORD_1
	v_lshrrev_b32_e32 v60, 16, v44
	v_fma_f16 v43, v45, v80, v43
	s_waitcnt vmcnt(3)
	v_mul_f16_sdwa v45, v60, v81 dst_sel:DWORD dst_unused:UNUSED_PAD src0_sel:DWORD src1_sel:WORD_1
	v_pack_b32_f16 v43, v46, v43
	v_fma_f16 v61, v44, v81, -v45
	ds_read2_b32 v[45:46], v40 offset0:196 offset1:210
	v_mul_f16_sdwa v44, v44, v81 dst_sel:DWORD dst_unused:UNUSED_PAD src0_sel:DWORD src1_sel:WORD_1
	v_fma_f16 v44, v60, v81, v44
	v_pack_b32_f16 v44, v61, v44
	ds_write2_b32 v40, v43, v44 offset0:168 offset1:182
	s_waitcnt lgkmcnt(1)
	v_lshrrev_b32_e32 v43, 16, v45
	s_waitcnt vmcnt(2)
	v_mul_f16_sdwa v44, v43, v82 dst_sel:DWORD dst_unused:UNUSED_PAD src0_sel:DWORD src1_sel:WORD_1
	v_fma_f16 v44, v45, v82, -v44
	v_mul_f16_sdwa v45, v45, v82 dst_sel:DWORD dst_unused:UNUSED_PAD src0_sel:DWORD src1_sel:WORD_1
	v_fma_f16 v43, v43, v82, v45
	v_pack_b32_f16 v43, v44, v43
	v_lshrrev_b32_e32 v44, 16, v46
	ds_read_b32 v60, v40 offset:896
	s_waitcnt vmcnt(1)
	v_mul_f16_sdwa v45, v44, v83 dst_sel:DWORD dst_unused:UNUSED_PAD src0_sel:DWORD src1_sel:WORD_1
	v_fma_f16 v45, v46, v83, -v45
	v_mul_f16_sdwa v46, v46, v83 dst_sel:DWORD dst_unused:UNUSED_PAD src0_sel:DWORD src1_sel:WORD_1
	v_fma_f16 v44, v44, v83, v46
	v_pack_b32_f16 v44, v45, v44
	ds_write2_b32 v40, v43, v44 offset0:196 offset1:210
	s_waitcnt lgkmcnt(1)
	v_lshrrev_b32_e32 v43, 16, v60
	s_waitcnt vmcnt(0)
	v_mul_f16_sdwa v44, v43, v84 dst_sel:DWORD dst_unused:UNUSED_PAD src0_sel:DWORD src1_sel:WORD_1
	v_mul_f16_sdwa v45, v60, v84 dst_sel:DWORD dst_unused:UNUSED_PAD src0_sel:DWORD src1_sel:WORD_1
	v_fma_f16 v44, v60, v84, -v44
	v_fma_f16 v43, v43, v84, v45
	v_pack_b32_f16 v43, v44, v43
	ds_write_b32 v40, v43 offset:896
.LBB0_9:
	s_or_b64 exec, exec, s[0:1]
	s_waitcnt lgkmcnt(0)
	; wave barrier
	s_waitcnt lgkmcnt(0)
	s_and_saveexec_b64 s[0:1], vcc
	s_cbranch_execz .LBB0_11
; %bb.10:
	ds_read2_b32 v[9:10], v40 offset1:14
	ds_read2_b32 v[11:12], v40 offset0:28 offset1:42
	ds_read2_b32 v[13:14], v40 offset0:56 offset1:70
	ds_read2_b32 v[15:16], v40 offset0:84 offset1:98
	ds_read2_b32 v[17:18], v40 offset0:112 offset1:126
	ds_read2_b32 v[19:20], v40 offset0:140 offset1:154
	ds_read2_b32 v[21:22], v40 offset0:168 offset1:182
	ds_read2_b32 v[5:6], v40 offset0:196 offset1:210
	ds_read_b32 v28, v40 offset:896
	s_waitcnt lgkmcnt(8)
	v_lshrrev_b32_e32 v41, 16, v9
	v_lshrrev_b32_e32 v47, 16, v10
	s_waitcnt lgkmcnt(7)
	v_lshrrev_b32_e32 v48, 16, v11
	v_lshrrev_b32_e32 v49, 16, v12
	;; [unrolled: 3-line block ×8, first 2 shown]
	s_waitcnt lgkmcnt(0)
	v_lshrrev_b32_e32 v31, 16, v28
.LBB0_11:
	s_or_b64 exec, exec, s[0:1]
	v_add_u32_e32 v46, 0x88, v42
	v_add_u32_e32 v45, 0xcc, v42
	;; [unrolled: 1-line block ×5, first 2 shown]
	s_waitcnt lgkmcnt(0)
	; wave barrier
	s_and_saveexec_b64 s[0:1], vcc
	s_cbranch_execz .LBB0_13
; %bb.12:
	v_sub_f16_e32 v60, v10, v28
	v_mul_f16_e32 v95, 0xbbf7, v60
	v_add_f16_e32 v81, v31, v47
	s_movk_i32 s3, 0x2de8
	v_sub_f16_e32 v62, v11, v6
	v_fma_f16 v61, v81, s3, v95
	v_mul_f16_e32 v96, 0xb1e1, v62
	v_add_f16_e32 v83, v29, v48
	s_mov_b32 s2, 0xbbdd
	v_add_f16_e32 v61, v41, v61
	v_fma_f16 v63, v83, s2, v96
	v_add_f16_e32 v61, v63, v61
	v_sub_f16_e32 v63, v12, v5
	v_mul_f16_e32 v97, 0x3bb2, v63
	v_add_f16_e32 v84, v30, v49
	s_mov_b32 s5, 0xb461
	v_fma_f16 v64, v84, s5, v97
	v_add_f16_e32 v61, v64, v61
	v_sub_f16_e32 v64, v13, v22
	v_mul_f16_e32 v98, 0x35c8, v64
	v_add_f16_e32 v85, v58, v50
	s_movk_i32 s15, 0x3b76
	v_fma_f16 v65, v85, s15, v98
	v_add_f16_e32 v61, v65, v61
	v_sub_f16_e32 v65, v14, v21
	v_mul_f16_e32 v99, 0xbb29, v65
	v_add_f16_e32 v86, v59, v51
	s_movk_i32 s17, 0x3722
	v_fma_f16 v66, v86, s17, v99
	v_add_f16_e32 v61, v66, v61
	v_sub_f16_e32 v66, v15, v20
	v_mul_f16_e32 v100, 0xb836, v66
	v_add_f16_e32 v87, v57, v52
	s_mov_b32 s16, 0xbacd
	v_fma_f16 v67, v87, s16, v100
	v_add_f16_e32 v61, v67, v61
	v_sub_f16_e32 v67, v16, v19
	v_mul_f16_e32 v101, 0x3a62, v67
	v_add_f16_e32 v88, v56, v53
	s_mov_b32 s18, 0xb8d2
	v_fma_f16 v68, v88, s18, v101
	v_add_f16_e32 v61, v68, v61
	v_sub_f16_e32 v68, v17, v18
	v_mul_f16_e32 v102, 0x3964, v68
	v_add_f16_e32 v90, v54, v55
	s_movk_i32 s21, 0x39e9
	v_fma_f16 v69, v90, s21, v102
	v_sub_f16_e32 v91, v47, v31
	v_add_f16_e32 v61, v69, v61
	v_add_f16_e32 v69, v28, v10
	v_mul_f16_e32 v103, 0xbbf7, v91
	v_fma_f16 v70, v69, s3, -v103
	v_sub_f16_e32 v92, v48, v29
	v_add_f16_e32 v71, v9, v70
	v_add_f16_e32 v70, v6, v11
	v_mul_f16_e32 v104, 0xb1e1, v92
	v_fma_f16 v72, v70, s2, -v104
	v_sub_f16_e32 v93, v49, v30
	v_add_f16_e32 v71, v72, v71
	v_add_f16_e32 v72, v5, v12
	v_mul_f16_e32 v105, 0x3bb2, v93
	v_fma_f16 v73, v72, s5, -v105
	v_sub_f16_e32 v94, v50, v58
	v_add_f16_e32 v71, v73, v71
	v_add_f16_e32 v73, v22, v13
	v_mul_f16_e32 v106, 0x35c8, v94
	v_fma_f16 v74, v73, s15, -v106
	v_sub_f16_e32 v107, v51, v59
	v_add_f16_e32 v71, v74, v71
	v_add_f16_e32 v74, v21, v14
	v_mul_f16_e32 v108, 0xbb29, v107
	v_fma_f16 v75, v74, s17, -v108
	v_sub_f16_e32 v109, v52, v57
	v_add_f16_e32 v71, v75, v71
	v_add_f16_e32 v75, v20, v15
	v_mul_f16_e32 v110, 0xb836, v109
	v_fma_f16 v76, v75, s16, -v110
	v_sub_f16_e32 v111, v53, v56
	v_add_f16_e32 v71, v76, v71
	v_add_f16_e32 v76, v19, v16
	v_mul_f16_e32 v112, 0x3a62, v111
	v_fma_f16 v77, v76, s18, -v112
	v_sub_f16_e32 v113, v55, v54
	v_add_f16_e32 v71, v77, v71
	v_add_f16_e32 v77, v18, v17
	v_mul_f16_e32 v114, 0x3964, v113
	v_fma_f16 v78, v77, s21, -v114
	v_mul_f16_e32 v115, 0xbbb2, v60
	v_fma_f16 v95, v81, s3, -v95
	v_add_f16_e32 v71, v78, v71
	v_fma_f16 v78, v81, s5, v115
	v_mul_f16_e32 v116, 0x3836, v62
	v_add_f16_e32 v95, v41, v95
	v_fma_f16 v96, v83, s2, -v96
	v_add_f16_e32 v78, v41, v78
	v_fma_f16 v79, v83, s16, v116
	v_mul_f16_e32 v117, 0x3964, v63
	v_add_f16_e32 v95, v96, v95
	v_fma_f16 v96, v84, s5, -v97
	v_add_f16_e32 v78, v79, v78
	v_fma_f16 v79, v84, s21, v117
	v_mul_f16_e32 v118, 0xbb29, v64
	v_add_f16_e32 v95, v96, v95
	v_fma_f16 v96, v85, s15, -v98
	v_add_f16_e32 v78, v79, v78
	v_fma_f16 v79, v85, s17, v118
	v_mul_f16_e32 v119, 0xb1e1, v65
	v_add_f16_e32 v95, v96, v95
	v_fma_f16 v96, v86, s17, -v99
	v_add_f16_e32 v78, v79, v78
	v_fma_f16 v79, v86, s2, v119
	v_mul_f16_e32 v120, 0x3bf7, v66
	v_add_f16_e32 v95, v96, v95
	v_fma_f16 v96, v87, s16, -v100
	v_add_f16_e32 v78, v79, v78
	v_fma_f16 v79, v87, s3, v120
	v_mul_f16_e32 v121, 0xb5c8, v67
	v_add_f16_e32 v95, v96, v95
	v_fma_f16 v96, v88, s18, -v101
	v_add_f16_e32 v78, v79, v78
	v_fma_f16 v79, v88, s15, v121
	v_mul_f16_e32 v122, 0xba62, v68
	v_add_f16_e32 v95, v96, v95
	v_fma_f16 v96, v90, s21, -v102
	v_add_f16_e32 v78, v79, v78
	v_fma_f16 v79, v90, s18, v122
	v_mul_f16_e32 v123, 0xbbb2, v91
	v_add_f16_e32 v95, v96, v95
	v_fma_f16 v96, v69, s3, v103
	v_add_f16_e32 v78, v79, v78
	v_fma_f16 v79, v69, s5, -v123
	v_mul_f16_e32 v124, 0x3836, v92
	v_add_f16_e32 v96, v9, v96
	v_fma_f16 v97, v70, s2, v104
	v_add_f16_e32 v79, v9, v79
	v_fma_f16 v80, v70, s16, -v124
	v_mul_f16_e32 v125, 0x3964, v93
	v_add_f16_e32 v96, v97, v96
	;; [unrolled: 5-line block ×7, first 2 shown]
	v_fma_f16 v97, v77, s21, v114
	v_add_f16_e32 v79, v80, v79
	v_fma_f16 v80, v77, s18, -v130
	v_mul_f16_e32 v131, 0xba62, v60
	s_movk_i32 s31, 0x3b29
	v_add_f16_e32 v96, v97, v96
	v_mul_f16_e32 v97, 0x3722, v81
	s_movk_i32 s30, 0x3a62
	v_add_f16_e32 v79, v80, v79
	v_fma_f16 v80, v81, s18, v131
	v_mul_f16_e32 v132, 0x3bb2, v62
	v_fma_f16 v98, v60, s31, v97
	v_mul_f16_e32 v99, 0xb8d2, v83
	v_add_f16_e32 v80, v41, v80
	v_fma_f16 v82, v83, s5, v132
	v_mul_f16_e32 v133, 0xb5c8, v63
	v_add_f16_e32 v98, v41, v98
	v_fma_f16 v100, v62, s30, v99
	s_mov_b32 s4, 0xb1e1
	v_add_f16_e32 v80, v82, v80
	v_fma_f16 v82, v84, s15, v133
	v_mul_f16_e32 v134, 0xb836, v64
	v_add_f16_e32 v98, v100, v98
	v_mul_f16_e32 v100, 0xbbdd, v84
	v_add_f16_e32 v80, v82, v80
	v_fma_f16 v82, v85, s16, v134
	v_mul_f16_e32 v135, 0x3bf7, v65
	v_fma_f16 v101, v63, s4, v100
	s_mov_b32 s24, 0xbbb2
	v_add_f16_e32 v80, v82, v80
	v_fma_f16 v82, v86, s3, v135
	v_mul_f16_e32 v136, 0xb964, v66
	v_fma_f16 v115, v81, s5, -v115
	v_add_f16_e32 v98, v101, v98
	v_mul_f16_e32 v101, 0xb461, v85
	v_add_f16_e32 v80, v82, v80
	v_fma_f16 v82, v87, s21, v136
	v_mul_f16_e32 v137, 0xb1e1, v67
	v_add_f16_e32 v115, v41, v115
	v_fma_f16 v116, v83, s16, -v116
	v_fma_f16 v102, v64, s24, v101
	s_mov_b32 s29, 0xb964
	v_add_f16_e32 v80, v82, v80
	v_fma_f16 v82, v88, s2, v137
	v_mul_f16_e32 v138, 0x3b29, v68
	v_add_f16_e32 v115, v116, v115
	v_fma_f16 v116, v84, s21, -v117
	v_add_f16_e32 v98, v102, v98
	v_mul_f16_e32 v102, 0x39e9, v86
	v_add_f16_e32 v80, v82, v80
	v_fma_f16 v82, v90, s17, v138
	v_mul_f16_e32 v139, 0xba62, v91
	v_add_f16_e32 v115, v116, v115
	v_fma_f16 v116, v85, s17, -v118
	v_fma_f16 v103, v65, s29, v102
	s_movk_i32 s23, 0x35c8
	v_add_f16_e32 v80, v82, v80
	v_fma_f16 v82, v69, s18, -v139
	v_mul_f16_e32 v140, 0x3bb2, v92
	v_add_f16_e32 v115, v116, v115
	v_fma_f16 v116, v86, s2, -v119
	v_add_f16_e32 v98, v103, v98
	v_mul_f16_e32 v103, 0x3b76, v87
	v_add_f16_e32 v82, v9, v82
	v_fma_f16 v89, v70, s5, -v140
	v_mul_f16_e32 v141, 0xb5c8, v93
	v_add_f16_e32 v115, v116, v115
	v_fma_f16 v116, v87, s3, -v120
	v_fma_f16 v104, v66, s23, v103
	s_movk_i32 s33, 0x3bf7
	v_add_f16_e32 v82, v89, v82
	v_fma_f16 v89, v72, s15, -v141
	v_mul_f16_e32 v142, 0xb836, v94
	v_add_f16_e32 v115, v116, v115
	v_fma_f16 v116, v88, s15, -v121
	v_add_f16_e32 v98, v104, v98
	v_mul_f16_e32 v104, 0x2de8, v88
	v_add_f16_e32 v82, v89, v82
	v_fma_f16 v89, v73, s16, -v142
	v_mul_f16_e32 v143, 0x3bf7, v107
	v_add_f16_e32 v115, v116, v115
	v_fma_f16 v116, v90, s18, -v122
	v_fma_f16 v105, v67, s33, v104
	s_movk_i32 s28, 0x3836
	v_add_f16_e32 v82, v89, v82
	v_fma_f16 v89, v74, s3, -v143
	v_mul_f16_e32 v144, 0xb964, v109
	v_add_f16_e32 v115, v116, v115
	v_fma_f16 v116, v69, s5, v123
	v_add_f16_e32 v98, v105, v98
	v_mul_f16_e32 v105, 0xbacd, v90
	v_add_f16_e32 v82, v89, v82
	v_fma_f16 v89, v75, s21, -v144
	v_mul_f16_e32 v145, 0xb1e1, v111
	v_add_f16_e32 v116, v9, v116
	v_fma_f16 v117, v70, s16, v124
	v_fma_f16 v106, v68, s28, v105
	v_add_f16_e32 v82, v89, v82
	v_fma_f16 v89, v76, s2, -v145
	v_mul_f16_e32 v146, 0x3b29, v113
	v_add_f16_e32 v116, v117, v116
	v_fma_f16 v117, v72, s21, v125
	v_add_f16_e32 v98, v106, v98
	v_mul_f16_e32 v106, 0xbb29, v91
	v_add_f16_e32 v82, v89, v82
	v_fma_f16 v89, v77, s17, -v146
	v_mul_f16_e32 v147, 0xb836, v60
	v_add_f16_e32 v116, v117, v116
	v_fma_f16 v117, v73, s17, v126
	v_fma_f16 v108, v69, s17, v106
	v_mul_f16_e32 v110, 0xba62, v92
	v_add_f16_e32 v10, v10, v9
	v_add_f16_e32 v82, v89, v82
	v_fma_f16 v89, v81, s16, v147
	v_mul_f16_e32 v148, 0x3b29, v62
	v_add_f16_e32 v116, v117, v116
	v_fma_f16 v117, v74, s2, v127
	v_add_f16_e32 v108, v9, v108
	v_fma_f16 v112, v70, s18, v110
	v_add_f16_e32 v10, v11, v10
	v_add_f16_e32 v89, v41, v89
	v_fma_f16 v149, v83, s17, v148
	v_add_f16_e32 v116, v117, v116
	v_fma_f16 v117, v75, s3, v128
	v_add_f16_e32 v108, v112, v108
	v_mul_f16_e32 v112, 0x31e1, v93
	v_add_f16_e32 v10, v12, v10
	v_add_f16_e32 v89, v149, v89
	v_mul_f16_e32 v149, 0xbbf7, v63
	v_add_f16_e32 v116, v117, v116
	v_fma_f16 v117, v76, s15, v129
	v_fma_f16 v114, v72, s2, v112
	v_add_f16_e32 v10, v13, v10
	v_fma_f16 v150, v84, s3, v149
	v_add_f16_e32 v116, v117, v116
	v_fma_f16 v117, v77, s18, v130
	v_add_f16_e32 v108, v114, v108
	v_mul_f16_e32 v114, 0x3bb2, v94
	v_add_f16_e32 v10, v14, v10
	v_add_f16_e32 v89, v150, v89
	v_mul_f16_e32 v150, 0x3a62, v64
	v_add_f16_e32 v116, v117, v116
	v_fma_f16 v117, v73, s5, v114
	v_add_f16_e32 v10, v15, v10
	v_fma_f16 v151, v85, s18, v150
	v_add_f16_e32 v108, v117, v108
	v_mul_f16_e32 v117, 0x3964, v107
	v_add_f16_e32 v10, v16, v10
	v_add_f16_e32 v89, v151, v89
	v_mul_f16_e32 v151, 0xb5c8, v65
	v_fma_f16 v118, v74, s21, v117
	v_add_f16_e32 v10, v17, v10
	v_fma_f16 v152, v86, s15, v151
	v_add_f16_e32 v108, v118, v108
	v_mul_f16_e32 v118, 0xb5c8, v109
	v_add_f16_e32 v10, v18, v10
	v_add_f16_e32 v89, v152, v89
	v_mul_f16_e32 v152, 0xb1e1, v66
	;; [unrolled: 8-line block ×3, first 2 shown]
	v_fma_f16 v120, v76, s3, v119
	v_add_f16_e32 v10, v21, v10
	s_mov_b32 s20, 0xbb29
	v_fma_f16 v154, v88, s21, v153
	v_add_f16_e32 v108, v120, v108
	v_mul_f16_e32 v120, 0xb836, v113
	v_add_f16_e32 v10, v22, v10
	s_mov_b32 s26, 0xba62
	v_add_f16_e32 v89, v154, v89
	v_mul_f16_e32 v154, 0xbbb2, v68
	v_fma_f16 v121, v77, s16, v120
	v_add_f16_e32 v5, v5, v10
	v_fma_f16 v10, v60, s20, v97
	s_movk_i32 s25, 0x3964
	v_fma_f16 v155, v90, s5, v154
	v_fma_f16 v131, v81, s18, -v131
	s_movk_i32 s34, 0x31e1
	v_add_f16_e32 v108, v121, v108
	v_mul_f16_e32 v121, 0x39e9, v81
	v_add_f16_e32 v10, v41, v10
	v_fma_f16 v11, v62, s26, v99
	s_movk_i32 s22, 0x3bb2
	v_add_f16_e32 v89, v155, v89
	v_mul_f16_e32 v155, 0xb836, v91
	v_add_f16_e32 v131, v41, v131
	v_fma_f16 v132, v83, s5, -v132
	v_fma_f16 v122, v60, s25, v121
	v_mul_f16_e32 v123, 0x2de8, v83
	v_add_f16_e32 v10, v11, v10
	v_fma_f16 v11, v63, s34, v100
	v_fma_f16 v156, v69, s16, -v155
	v_mul_f16_e32 v157, 0x3b29, v92
	v_add_f16_e32 v131, v132, v131
	v_fma_f16 v132, v84, s15, -v133
	v_add_f16_e32 v122, v41, v122
	v_fma_f16 v124, v62, s33, v123
	v_add_f16_e32 v10, v11, v10
	v_fma_f16 v11, v64, s22, v101
	s_mov_b32 s27, 0xb5c8
	v_add_f16_e32 v156, v9, v156
	v_fma_f16 v158, v70, s17, -v157
	v_add_f16_e32 v131, v132, v131
	v_fma_f16 v132, v85, s16, -v134
	v_add_f16_e32 v122, v124, v122
	v_mul_f16_e32 v124, 0xb8d2, v84
	v_add_f16_e32 v10, v11, v10
	v_fma_f16 v11, v65, s25, v102
	s_mov_b32 s14, 0xbbf7
	v_add_f16_e32 v156, v158, v156
	v_mul_f16_e32 v158, 0xbbf7, v93
	v_add_f16_e32 v131, v132, v131
	v_fma_f16 v132, v86, s3, -v135
	v_fma_f16 v125, v63, s30, v124
	v_add_f16_e32 v10, v11, v10
	v_fma_f16 v11, v66, s27, v103
	s_mov_b32 s19, 0xb836
	v_fma_f16 v159, v72, s3, -v158
	v_add_f16_e32 v131, v132, v131
	v_fma_f16 v132, v87, s21, -v136
	v_add_f16_e32 v122, v125, v122
	v_mul_f16_e32 v125, 0xbbdd, v85
	v_add_f16_e32 v10, v11, v10
	v_fma_f16 v11, v67, s14, v104
	v_add_f16_e32 v156, v159, v156
	v_mul_f16_e32 v159, 0x3a62, v94
	v_add_f16_e32 v131, v132, v131
	v_fma_f16 v132, v88, s2, -v137
	v_fma_f16 v126, v64, s34, v125
	v_add_f16_e32 v10, v11, v10
	v_fma_f16 v11, v68, s19, v105
	v_fma_f16 v160, v73, s18, -v159
	v_add_f16_e32 v131, v132, v131
	v_fma_f16 v132, v90, s17, -v138
	v_add_f16_e32 v122, v126, v122
	v_mul_f16_e32 v126, 0xbacd, v86
	v_add_f16_e32 v10, v11, v10
	v_fma_f16 v11, v69, s17, -v106
	v_add_f16_e32 v156, v160, v156
	v_mul_f16_e32 v160, 0xb5c8, v107
	v_add_f16_e32 v131, v132, v131
	v_fma_f16 v132, v69, s18, v139
	v_fma_f16 v127, v65, s19, v126
	v_add_f16_e32 v11, v9, v11
	v_fma_f16 v12, v70, s18, -v110
	v_fma_f16 v161, v74, s15, -v160
	v_add_f16_e32 v132, v9, v132
	v_fma_f16 v133, v70, s5, v140
	v_add_f16_e32 v122, v127, v122
	v_mul_f16_e32 v127, 0xb461, v87
	v_add_f16_e32 v11, v12, v11
	v_fma_f16 v12, v72, s2, -v112
	v_add_f16_e32 v156, v161, v156
	v_mul_f16_e32 v161, 0xb1e1, v109
	v_add_f16_e32 v132, v133, v132
	v_fma_f16 v133, v72, s15, v141
	v_fma_f16 v128, v66, s24, v127
	v_add_f16_e32 v11, v12, v11
	v_fma_f16 v12, v73, s5, -v114
	v_fma_f16 v162, v75, s2, -v161
	v_add_f16_e32 v132, v133, v132
	v_fma_f16 v133, v73, s16, v142
	;; [unrolled: 14-line block ×4, first 2 shown]
	v_add_f16_e32 v122, v130, v122
	v_mul_f16_e32 v130, 0xb964, v91
	v_add_f16_e32 v11, v12, v11
	v_fma_f16 v12, v60, s29, v121
	v_add_f16_e32 v156, v164, v156
	v_mul_f16_e32 v164, 0xb1e1, v60
	v_add_f16_e32 v132, v133, v132
	v_fma_f16 v133, v69, s21, v130
	v_mul_f16_e32 v134, 0xbbf7, v92
	v_add_f16_e32 v12, v41, v12
	v_fma_f16 v13, v62, s14, v123
	v_fma_f16 v165, v81, s2, v164
	v_mul_f16_e32 v166, 0x35c8, v62
	v_add_f16_e32 v133, v9, v133
	v_fma_f16 v135, v70, s3, v134
	v_add_f16_e32 v12, v13, v12
	v_fma_f16 v13, v63, s26, v124
	;; [unrolled: 2-line block ×3, first 2 shown]
	v_add_f16_e32 v133, v135, v133
	v_mul_f16_e32 v135, 0xba62, v93
	v_add_f16_e32 v12, v13, v12
	v_fma_f16 v13, v64, s4, v125
	v_add_f16_e32 v165, v167, v165
	v_mul_f16_e32 v167, 0xb836, v63
	v_fma_f16 v136, v72, s18, v135
	v_add_f16_e32 v12, v13, v12
	v_fma_f16 v13, v65, s28, v126
	v_fma_f16 v168, v84, s16, v167
	v_add_f16_e32 v133, v136, v133
	v_mul_f16_e32 v136, 0xb1e1, v94
	v_add_f16_e32 v12, v13, v12
	v_fma_f16 v13, v66, s22, v127
	v_add_f16_e32 v165, v168, v165
	v_mul_f16_e32 v168, 0x3964, v64
	v_fma_f16 v137, v73, s2, v136
	v_add_f16_e32 v12, v13, v12
	v_fma_f16 v13, v67, s31, v128
	v_fma_f16 v169, v85, s21, v168
	v_add_f16_e32 v133, v137, v133
	v_mul_f16_e32 v137, 0x3836, v107
	v_add_f16_e32 v12, v13, v12
	v_fma_f16 v13, v68, s23, v129
	v_add_f16_e32 v165, v169, v165
	v_mul_f16_e32 v169, 0xba62, v65
	v_fma_f16 v138, v74, s16, v137
	v_add_f16_e32 v12, v13, v12
	v_fma_f16 v13, v69, s21, -v130
	v_fma_f16 v170, v86, s18, v169
	v_add_f16_e32 v133, v138, v133
	v_mul_f16_e32 v138, 0x3bb2, v109
	v_add_f16_e32 v13, v9, v13
	v_fma_f16 v14, v70, s3, -v134
	v_add_f16_e32 v165, v170, v165
	v_mul_f16_e32 v170, 0x3b29, v66
	v_fma_f16 v139, v75, s5, v138
	v_add_f16_e32 v13, v14, v13
	v_fma_f16 v14, v72, s18, -v135
	v_fma_f16 v171, v87, s17, v170
	v_add_f16_e32 v133, v139, v133
	v_mul_f16_e32 v139, 0x3b29, v111
	v_add_f16_e32 v13, v14, v13
	v_fma_f16 v14, v73, s2, -v136
	;; [unrolled: 10-line block ×3, first 2 shown]
	v_add_f16_e32 v165, v172, v165
	v_mul_f16_e32 v172, 0x3bf7, v68
	v_fma_f16 v164, v81, s2, -v164
	v_fma_f16 v147, v81, s16, -v147
	v_fma_f16 v141, v77, s15, v140
	v_mul_f16_e32 v81, 0x3b76, v81
	v_add_f16_e32 v13, v14, v13
	v_fma_f16 v14, v76, s17, -v139
	v_fma_f16 v173, v90, s3, v172
	v_add_f16_e32 v164, v41, v164
	v_fma_f16 v166, v83, s15, -v166
	v_add_f16_e32 v147, v41, v147
	v_fma_f16 v148, v83, s17, -v148
	v_add_f16_e32 v133, v141, v133
	v_fma_f16 v141, v60, s23, v81
	v_mul_f16_e32 v83, 0x39e9, v83
	v_add_f16_e32 v13, v14, v13
	v_fma_f16 v14, v77, s15, -v140
	v_add_f16_e32 v165, v173, v165
	v_mul_f16_e32 v173, 0xb1e1, v91
	v_add_f16_e32 v164, v166, v164
	v_fma_f16 v166, v84, s16, -v167
	v_add_f16_e32 v147, v148, v147
	v_fma_f16 v148, v84, s3, -v149
	v_add_f16_e32 v141, v41, v141
	v_fma_f16 v142, v62, s25, v83
	v_mul_f16_e32 v84, 0x3722, v84
	v_add_f16_e32 v5, v6, v5
	v_add_f16_e32 v6, v47, v41
	;; [unrolled: 1-line block ×3, first 2 shown]
	v_fma_f16 v14, v60, s27, v81
	v_fma_f16 v174, v69, s2, -v173
	v_mul_f16_e32 v175, 0x35c8, v92
	v_add_f16_e32 v164, v166, v164
	v_fma_f16 v166, v85, s21, -v168
	v_add_f16_e32 v147, v148, v147
	v_fma_f16 v148, v85, s18, -v150
	v_add_f16_e32 v141, v142, v141
	v_fma_f16 v142, v63, s31, v84
	v_mul_f16_e32 v85, 0x2de8, v85
	v_add_f16_e32 v6, v48, v6
	v_add_f16_e32 v14, v41, v14
	v_fma_f16 v15, v62, s29, v83
	v_add_f16_e32 v174, v9, v174
	v_fma_f16 v176, v70, s15, -v175
	v_add_f16_e32 v164, v166, v164
	v_fma_f16 v166, v86, s18, -v169
	;; [unrolled: 2-line block ×3, first 2 shown]
	v_add_f16_e32 v141, v142, v141
	v_fma_f16 v142, v64, s33, v85
	v_mul_f16_e32 v86, 0xb461, v86
	v_add_f16_e32 v6, v49, v6
	v_add_f16_e32 v14, v15, v14
	v_fma_f16 v15, v63, s20, v84
	v_add_f16_e32 v174, v176, v174
	v_mul_f16_e32 v176, 0xb836, v93
	v_add_f16_e32 v164, v166, v164
	v_fma_f16 v166, v87, s17, -v170
	v_add_f16_e32 v147, v148, v147
	v_fma_f16 v148, v87, s2, -v152
	v_add_f16_e32 v141, v142, v141
	v_fma_f16 v142, v65, s22, v86
	v_mul_f16_e32 v87, 0xb8d2, v87
	v_add_f16_e32 v6, v50, v6
	v_add_f16_e32 v14, v15, v14
	v_fma_f16 v15, v64, s14, v85
	v_fma_f16 v177, v72, s16, -v176
	v_add_f16_e32 v164, v166, v164
	v_fma_f16 v166, v88, s5, -v171
	v_add_f16_e32 v147, v148, v147
	;; [unrolled: 2-line block ×3, first 2 shown]
	v_fma_f16 v142, v66, s30, v87
	v_mul_f16_e32 v88, 0xbacd, v88
	v_add_f16_e32 v6, v51, v6
	v_add_f16_e32 v14, v15, v14
	v_fma_f16 v15, v65, s24, v86
	v_add_f16_e32 v174, v177, v174
	v_mul_f16_e32 v177, 0x3964, v94
	v_add_f16_e32 v164, v166, v164
	v_fma_f16 v166, v90, s3, -v172
	v_add_f16_e32 v147, v148, v147
	v_fma_f16 v148, v90, s5, -v154
	v_add_f16_e32 v141, v142, v141
	v_fma_f16 v142, v67, s28, v88
	v_mul_f16_e32 v90, 0xbbdd, v90
	v_add_f16_e32 v6, v52, v6
	v_add_f16_e32 v14, v15, v14
	v_fma_f16 v15, v66, s26, v87
	v_fma_f16 v178, v73, s21, -v177
	v_add_f16_e32 v141, v142, v141
	v_fma_f16 v142, v68, s34, v90
	v_mul_f16_e32 v91, 0xb5c8, v91
	v_add_f16_e32 v6, v53, v6
	v_add_f16_e32 v14, v15, v14
	v_fma_f16 v15, v67, s19, v88
	v_add_f16_e32 v174, v178, v174
	v_mul_f16_e32 v178, 0xba62, v107
	v_add_f16_e32 v141, v142, v141
	v_fma_f16 v142, v69, s15, v91
	v_mul_f16_e32 v92, 0xb964, v92
	v_add_f16_e32 v6, v55, v6
	v_add_f16_e32 v14, v15, v14
	v_fma_f16 v15, v68, s4, v90
	v_fma_f16 v179, v74, s18, -v178
	v_add_f16_e32 v164, v166, v164
	v_fma_f16 v166, v69, s2, v173
	v_add_f16_e32 v147, v148, v147
	v_fma_f16 v148, v69, s16, v155
	;; [unrolled: 2-line block ×3, first 2 shown]
	v_mul_f16_e32 v93, 0xbb29, v93
	v_add_f16_e32 v6, v54, v6
	v_add_f16_e32 v14, v15, v14
	v_fma_f16 v15, v69, s15, -v91
	v_add_f16_e32 v174, v179, v174
	v_mul_f16_e32 v179, 0x3b29, v109
	v_add_f16_e32 v166, v9, v166
	v_add_f16_e32 v148, v9, v148
	;; [unrolled: 1-line block ×3, first 2 shown]
	v_fma_f16 v143, v72, s17, v93
	v_mul_f16_e32 v94, 0xbbf7, v94
	v_add_f16_e32 v6, v56, v6
	v_add_f16_e32 v9, v9, v15
	v_fma_f16 v15, v70, s21, -v92
	v_fma_f16 v180, v75, s17, -v179
	v_add_f16_e32 v142, v143, v142
	v_fma_f16 v143, v73, s3, v94
	v_mul_f16_e32 v107, 0xbbb2, v107
	v_add_f16_e32 v6, v57, v6
	v_add_f16_e32 v9, v15, v9
	v_fma_f16 v15, v72, s17, -v93
	v_add_f16_e32 v174, v180, v174
	v_mul_f16_e32 v180, 0xbbb2, v111
	v_fma_f16 v149, v70, s17, v157
	v_add_f16_e32 v142, v143, v142
	v_fma_f16 v143, v74, s5, v107
	v_mul_f16_e32 v109, 0xba62, v109
	v_add_f16_e32 v6, v59, v6
	v_add_f16_e32 v9, v15, v9
	v_fma_f16 v15, v73, s3, -v94
	v_fma_f16 v181, v76, s5, -v180
	v_fma_f16 v167, v70, s15, v175
	v_add_f16_e32 v148, v149, v148
	v_fma_f16 v149, v72, s3, v158
	v_add_f16_e32 v142, v143, v142
	v_fma_f16 v143, v75, s18, v109
	v_mul_f16_e32 v111, 0xb836, v111
	v_add_f16_e32 v6, v58, v6
	v_add_f16_e32 v9, v15, v9
	v_fma_f16 v15, v74, s5, -v107
	v_add_f16_e32 v174, v181, v174
	v_mul_f16_e32 v181, 0x3bf7, v113
	v_add_f16_e32 v166, v167, v166
	v_fma_f16 v167, v72, s16, v176
	v_add_f16_e32 v148, v149, v148
	v_fma_f16 v149, v73, s18, v159
	;; [unrolled: 2-line block ×3, first 2 shown]
	v_mul_f16_e32 v113, 0xb1e1, v113
	v_add_f16_e32 v6, v30, v6
	v_add_f16_e32 v9, v15, v9
	v_fma_f16 v15, v75, s18, -v109
	v_add_f16_e32 v166, v167, v166
	v_fma_f16 v167, v73, s21, v177
	v_add_f16_e32 v148, v149, v148
	v_fma_f16 v149, v74, s15, v160
	;; [unrolled: 2-line block ×3, first 2 shown]
	v_add_f16_e32 v6, v29, v6
	v_add_f16_e32 v9, v15, v9
	v_fma_f16 v15, v76, s16, -v111
	v_add_f16_e32 v166, v167, v166
	v_fma_f16 v167, v74, s18, v178
	v_add_f16_e32 v148, v149, v148
	v_fma_f16 v149, v75, s2, v161
	v_add_f16_e32 v142, v143, v142
	v_add_f16_e32 v5, v28, v5
	;; [unrolled: 1-line block ×4, first 2 shown]
	v_fma_f16 v15, v77, s2, -v113
	v_add_f16_e32 v166, v167, v166
	v_fma_f16 v167, v75, s17, v179
	v_add_f16_e32 v148, v149, v148
	v_fma_f16 v149, v76, s21, v162
	v_add_f16_e32 v9, v15, v9
	v_lshl_add_u32 v15, v27, 2, v26
	v_pack_b32_f16 v16, v142, v141
	v_pack_b32_f16 v5, v5, v6
	v_add_f16_e32 v166, v167, v166
	v_fma_f16 v167, v76, s5, v180
	v_add_f16_e32 v148, v149, v148
	v_fma_f16 v149, v77, s5, v163
	ds_write2_b32 v15, v5, v16 offset1:1
	v_pack_b32_f16 v5, v108, v98
	v_pack_b32_f16 v6, v133, v122
	v_fma_f16 v182, v77, s3, -v181
	v_add_f16_e32 v166, v167, v166
	v_fma_f16 v167, v77, s3, v181
	v_add_f16_e32 v148, v149, v148
	ds_write2_b32 v15, v6, v5 offset0:2 offset1:3
	v_pack_b32_f16 v5, v116, v115
	v_pack_b32_f16 v6, v96, v95
	v_add_f16_e32 v174, v182, v174
	v_add_f16_e32 v166, v167, v166
	ds_write2_b32 v15, v6, v5 offset0:4 offset1:5
	v_pack_b32_f16 v5, v148, v147
	v_pack_b32_f16 v6, v132, v131
	ds_write2_b32 v15, v6, v5 offset0:6 offset1:7
	v_pack_b32_f16 v5, v174, v165
	v_pack_b32_f16 v6, v166, v164
	;; [unrolled: 3-line block ×5, first 2 shown]
	ds_write2_b32 v15, v6, v5 offset0:14 offset1:15
	v_pack_b32_f16 v5, v9, v14
	ds_write_b32 v15, v5 offset:64
.LBB0_13:
	s_or_b64 exec, exec, s[0:1]
	s_waitcnt lgkmcnt(0)
	; wave barrier
	s_waitcnt lgkmcnt(0)
	ds_read2_b32 v[5:6], v32 offset0:34 offset1:51
	ds_read2_b32 v[9:10], v32 offset1:17
	ds_read2_b32 v[11:12], v32 offset0:68 offset1:85
	ds_read2_b32 v[13:14], v32 offset0:102 offset1:119
	;; [unrolled: 1-line block ×5, first 2 shown]
	s_movk_i32 s0, 0x2b26
	s_waitcnt lgkmcnt(6)
	v_lshrrev_b32_e32 v21, 16, v5
	v_mul_f16_sdwa v50, v0, v21 dst_sel:DWORD dst_unused:UNUSED_PAD src0_sel:WORD_1 src1_sel:DWORD
	s_waitcnt lgkmcnt(4)
	v_lshrrev_b32_e32 v22, 16, v11
	v_fma_f16 v50, v0, v5, v50
	v_mul_f16_sdwa v5, v0, v5 dst_sel:DWORD dst_unused:UNUSED_PAD src0_sel:WORD_1 src1_sel:DWORD
	v_fma_f16 v5, v0, v21, -v5
	v_mul_f16_sdwa v21, v1, v22 dst_sel:DWORD dst_unused:UNUSED_PAD src0_sel:WORD_1 src1_sel:DWORD
	s_waitcnt lgkmcnt(3)
	v_lshrrev_b32_e32 v26, 16, v13
	v_fma_f16 v21, v1, v11, v21
	v_mul_f16_sdwa v11, v1, v11 dst_sel:DWORD dst_unused:UNUSED_PAD src0_sel:WORD_1 src1_sel:DWORD
	v_fma_f16 v11, v1, v22, -v11
	;; [unrolled: 6-line block ×5, first 2 shown]
	v_mul_f16_sdwa v28, v8, v29 dst_sel:DWORD dst_unused:UNUSED_PAD src0_sel:WORD_1 src1_sel:DWORD
	v_lshrrev_b32_e32 v30, 16, v6
	v_fma_f16 v28, v8, v19, v28
	v_mul_f16_sdwa v19, v8, v19 dst_sel:DWORD dst_unused:UNUSED_PAD src0_sel:WORD_1 src1_sel:DWORD
	v_fma_f16 v19, v8, v29, -v19
	v_mul_f16_sdwa v29, v0, v30 dst_sel:DWORD dst_unused:UNUSED_PAD src0_sel:WORD_1 src1_sel:DWORD
	v_lshrrev_b32_e32 v31, 16, v12
	v_fma_f16 v29, v0, v6, v29
	v_mul_f16_sdwa v6, v0, v6 dst_sel:DWORD dst_unused:UNUSED_PAD src0_sel:WORD_1 src1_sel:DWORD
	v_fma_f16 v0, v0, v30, -v6
	;; [unrolled: 5-line block ×6, first 2 shown]
	v_mul_f16_sdwa v18, v8, v49 dst_sel:DWORD dst_unused:UNUSED_PAD src0_sel:WORD_1 src1_sel:DWORD
	v_fma_f16 v18, v8, v20, v18
	v_mul_f16_sdwa v20, v8, v20 dst_sel:DWORD dst_unused:UNUSED_PAD src0_sel:WORD_1 src1_sel:DWORD
	v_fma_f16 v8, v8, v49, -v20
	v_add_f16_e32 v20, v50, v28
	v_add_f16_e32 v30, v5, v19
	v_sub_f16_e32 v5, v5, v19
	v_add_f16_e32 v19, v21, v27
	v_add_f16_e32 v31, v11, v17
	v_sub_f16_e32 v28, v50, v28
	v_sub_f16_e32 v21, v21, v27
	;; [unrolled: 1-line block ×3, first 2 shown]
	v_add_f16_e32 v17, v22, v26
	v_add_f16_e32 v27, v13, v15
	v_sub_f16_e32 v22, v26, v22
	v_sub_f16_e32 v13, v15, v13
	v_add_f16_e32 v15, v19, v20
	v_add_f16_e32 v26, v31, v30
	v_sub_f16_e32 v41, v19, v20
	v_sub_f16_e32 v47, v31, v30
	;; [unrolled: 1-line block ×6, first 2 shown]
	v_add_f16_e32 v48, v22, v21
	v_add_f16_e32 v49, v13, v11
	v_sub_f16_e32 v50, v22, v21
	v_sub_f16_e32 v51, v13, v11
	;; [unrolled: 1-line block ×4, first 2 shown]
	v_add_f16_e32 v15, v17, v15
	v_add_f16_e32 v17, v27, v26
	v_sub_f16_e32 v22, v28, v22
	v_sub_f16_e32 v13, v5, v13
	v_add_f16_e32 v26, v48, v28
	v_add_f16_e32 v5, v49, v5
	;; [unrolled: 1-line block ×3, first 2 shown]
	v_add_f16_sdwa v9, v9, v17 dst_sel:DWORD dst_unused:UNUSED_PAD src0_sel:WORD_1 src1_sel:DWORD
	v_mul_f16_e32 v20, 0x3a52, v20
	v_mul_f16_e32 v28, 0x3a52, v30
	;; [unrolled: 1-line block ×6, first 2 shown]
	s_mov_b32 s1, 0xbb00
	v_mul_f16_e32 v51, 0xbb00, v21
	v_mul_f16_e32 v52, 0xbb00, v11
	s_mov_b32 s2, 0xbcab
	s_movk_i32 s3, 0x39e0
	s_mov_b32 s4, 0xb9e0
	s_mov_b32 s5, 0xb574
	s_movk_i32 s14, 0x3574
	v_fma_f16 v15, v15, s2, v27
	v_fma_f16 v17, v17, s2, v9
	;; [unrolled: 1-line block ×4, first 2 shown]
	v_fma_f16 v30, v41, s3, -v30
	v_fma_f16 v48, v47, s3, -v48
	;; [unrolled: 1-line block ×4, first 2 shown]
	v_fma_f16 v41, v22, s5, v49
	v_fma_f16 v47, v13, s5, v50
	v_fma_f16 v11, v11, s1, -v50
	v_fma_f16 v22, v22, s14, -v51
	;; [unrolled: 1-line block ×3, first 2 shown]
	s_mov_b32 s15, 0xb70e
	v_fma_f16 v21, v21, s1, -v49
	v_add_f16_e32 v19, v19, v15
	v_add_f16_e32 v31, v31, v17
	;; [unrolled: 1-line block ×6, first 2 shown]
	v_fma_f16 v20, v26, s15, v41
	v_fma_f16 v28, v5, s15, v47
	;; [unrolled: 1-line block ×6, first 2 shown]
	v_add_f16_e32 v13, v28, v19
	v_sub_f16_e32 v26, v31, v20
	v_add_f16_e32 v41, v5, v15
	v_sub_f16_e32 v47, v17, v22
	v_sub_f16_e32 v5, v15, v5
	v_add_f16_e32 v15, v22, v17
	v_sub_f16_e32 v17, v19, v28
	v_add_f16_e32 v19, v20, v31
	v_add_f16_e32 v20, v29, v18
	;; [unrolled: 1-line block ×3, first 2 shown]
	v_sub_f16_e32 v0, v0, v8
	v_add_f16_e32 v8, v6, v16
	v_add_f16_e32 v28, v1, v7
	v_sub_f16_e32 v18, v29, v18
	v_sub_f16_e32 v6, v6, v16
	;; [unrolled: 1-line block ×3, first 2 shown]
	v_add_f16_e32 v7, v12, v14
	v_add_f16_e32 v16, v2, v3
	v_sub_f16_e32 v12, v14, v12
	v_sub_f16_e32 v2, v3, v2
	v_add_f16_e32 v3, v8, v20
	v_add_f16_e32 v14, v28, v22
	v_sub_f16_e32 v49, v30, v11
	v_add_f16_e32 v50, v21, v48
	v_add_f16_e32 v11, v11, v30
	v_sub_f16_e32 v21, v48, v21
	v_sub_f16_e32 v29, v8, v20
	;; [unrolled: 1-line block ×7, first 2 shown]
	v_add_f16_e32 v31, v12, v6
	v_add_f16_e32 v48, v2, v1
	v_sub_f16_e32 v51, v12, v6
	v_sub_f16_e32 v52, v2, v1
	;; [unrolled: 1-line block ×4, first 2 shown]
	v_add_f16_e32 v3, v7, v3
	v_add_f16_e32 v7, v16, v14
	v_sub_f16_e32 v12, v18, v12
	v_sub_f16_e32 v2, v0, v2
	v_add_f16_e32 v14, v31, v18
	v_add_f16_e32 v0, v48, v0
	;; [unrolled: 1-line block ×3, first 2 shown]
	v_add_f16_sdwa v10, v10, v7 dst_sel:DWORD dst_unused:UNUSED_PAD src0_sel:WORD_1 src1_sel:DWORD
	v_mul_f16_e32 v18, 0x3a52, v20
	v_mul_f16_e32 v20, 0x3a52, v22
	;; [unrolled: 1-line block ×8, first 2 shown]
	v_fma_f16 v3, v3, s2, v16
	v_fma_f16 v7, v7, s2, v10
	v_fma_f16 v8, v8, s0, v18
	v_fma_f16 v28, v28, s0, v20
	v_fma_f16 v22, v29, s3, -v22
	v_fma_f16 v31, v30, s3, -v31
	;; [unrolled: 1-line block ×4, first 2 shown]
	v_fma_f16 v29, v12, s5, v48
	v_fma_f16 v30, v2, s5, v51
	v_fma_f16 v1, v1, s1, -v51
	v_fma_f16 v12, v12, s14, -v52
	v_fma_f16 v2, v2, s14, -v53
	v_add_f16_e32 v8, v8, v3
	v_add_f16_e32 v28, v28, v7
	;; [unrolled: 1-line block ×6, first 2 shown]
	v_fma_f16 v20, v0, s15, v30
	v_fma_f16 v1, v0, s15, v1
	;; [unrolled: 1-line block ×5, first 2 shown]
	v_add_f16_e32 v29, v0, v3
	v_sub_f16_e32 v30, v7, v12
	v_sub_f16_e32 v0, v3, v0
	v_add_f16_e32 v3, v12, v7
	v_pack_b32_f16 v9, v27, v9
	v_pack_b32_f16 v12, v13, v26
	s_waitcnt lgkmcnt(0)
	; wave barrier
	ds_write2_b32 v32, v9, v12 offset1:17
	v_pack_b32_f16 v9, v41, v47
	v_pack_b32_f16 v12, v49, v50
	v_fma_f16 v6, v6, s1, -v48
	ds_write2_b32 v32, v9, v12 offset0:34 offset1:51
	v_pack_b32_f16 v9, v11, v21
	v_pack_b32_f16 v5, v5, v15
	v_fma_f16 v6, v14, s15, v6
	v_add_f16_e32 v2, v20, v8
	v_sub_f16_e32 v14, v28, v18
	ds_write2_b32 v32, v9, v5 offset0:68 offset1:85
	v_pack_b32_f16 v5, v17, v19
	v_pack_b32_f16 v9, v16, v10
	v_sub_f16_e32 v48, v22, v1
	v_add_f16_e32 v51, v6, v31
	v_add_f16_e32 v1, v1, v22
	v_sub_f16_e32 v6, v31, v6
	ds_write2_b32 v32, v5, v9 offset0:102 offset1:119
	v_pack_b32_f16 v2, v2, v14
	v_pack_b32_f16 v5, v29, v30
	v_sub_f16_e32 v7, v8, v20
	v_add_f16_e32 v8, v18, v28
	ds_write2_b32 v32, v2, v5 offset0:136 offset1:153
	v_pack_b32_f16 v2, v48, v51
	v_pack_b32_f16 v1, v1, v6
	ds_write2_b32 v32, v2, v1 offset0:170 offset1:187
	v_pack_b32_f16 v0, v0, v3
	v_pack_b32_f16 v1, v7, v8
	ds_write2_b32 v32, v0, v1 offset0:204 offset1:221
	s_waitcnt lgkmcnt(0)
	; wave barrier
	s_waitcnt lgkmcnt(0)
	ds_read2_b32 v[0:1], v32 offset1:17
	ds_read2_b32 v[2:3], v32 offset0:102 offset1:119
	ds_read2_b32 v[5:6], v32 offset0:136 offset1:153
	;; [unrolled: 1-line block ×6, first 2 shown]
	s_waitcnt lgkmcnt(5)
	v_lshrrev_b32_e32 v16, 16, v3
	v_mul_f16_sdwa v32, v33, v16 dst_sel:DWORD dst_unused:UNUSED_PAD src0_sel:WORD_1 src1_sel:DWORD
	s_waitcnt lgkmcnt(4)
	v_lshrrev_b32_e32 v18, 16, v5
	v_fma_f16 v32, v33, v3, v32
	v_mul_f16_sdwa v3, v33, v3 dst_sel:DWORD dst_unused:UNUSED_PAD src0_sel:WORD_1 src1_sel:DWORD
	v_fma_f16 v3, v33, v16, -v3
	v_mul_f16_sdwa v16, v34, v18 dst_sel:DWORD dst_unused:UNUSED_PAD src0_sel:WORD_1 src1_sel:DWORD
	v_lshrrev_b32_e32 v20, 16, v6
	v_fma_f16 v16, v34, v5, v16
	v_mul_f16_sdwa v5, v34, v5 dst_sel:DWORD dst_unused:UNUSED_PAD src0_sel:WORD_1 src1_sel:DWORD
	v_fma_f16 v5, v34, v18, -v5
	v_mul_f16_sdwa v18, v35, v20 dst_sel:DWORD dst_unused:UNUSED_PAD src0_sel:WORD_1 src1_sel:DWORD
	s_waitcnt lgkmcnt(2)
	v_lshrrev_b32_e32 v22, 16, v9
	v_fma_f16 v18, v35, v6, v18
	v_mul_f16_sdwa v6, v35, v6 dst_sel:DWORD dst_unused:UNUSED_PAD src0_sel:WORD_1 src1_sel:DWORD
	v_fma_f16 v6, v35, v20, -v6
	v_mul_f16_sdwa v20, v36, v22 dst_sel:DWORD dst_unused:UNUSED_PAD src0_sel:WORD_1 src1_sel:DWORD
	v_lshrrev_b32_e32 v27, 16, v10
	v_fma_f16 v20, v36, v9, v20
	v_mul_f16_sdwa v9, v36, v9 dst_sel:DWORD dst_unused:UNUSED_PAD src0_sel:WORD_1 src1_sel:DWORD
	v_fma_f16 v9, v36, v22, -v9
	;; [unrolled: 11-line block ×3, first 2 shown]
	v_mul_f16_sdwa v29, v39, v31 dst_sel:DWORD dst_unused:UNUSED_PAD src0_sel:WORD_1 src1_sel:DWORD
	v_lshrrev_b32_e32 v15, 16, v0
	v_lshrrev_b32_e32 v17, 16, v1
	v_fma_f16 v29, v39, v14, v29
	v_mul_f16_sdwa v14, v39, v14 dst_sel:DWORD dst_unused:UNUSED_PAD src0_sel:WORD_1 src1_sel:DWORD
	v_fma_f16 v14, v39, v31, -v14
	v_sub_f16_e32 v31, v0, v32
	v_sub_f16_e32 v3, v15, v3
	;; [unrolled: 1-line block ×4, first 2 shown]
	v_lshrrev_b32_e32 v19, 16, v7
	v_fma_f16 v0, v0, 2.0, -v31
	v_fma_f16 v15, v15, 2.0, -v3
	;; [unrolled: 1-line block ×4, first 2 shown]
	v_sub_f16_e32 v18, v7, v18
	v_sub_f16_e32 v6, v19, v6
	v_pack_b32_f16 v0, v0, v15
	v_pack_b32_f16 v1, v1, v17
	v_lshrrev_b32_e32 v21, 16, v8
	v_fma_f16 v7, v7, 2.0, -v18
	v_fma_f16 v19, v19, 2.0, -v6
	v_pack_b32_f16 v3, v31, v3
	ds_write2_b32 v40, v0, v1 offset1:17
	v_pack_b32_f16 v0, v16, v5
	v_sub_f16_e32 v20, v8, v20
	v_sub_f16_e32 v9, v21, v9
	ds_write2_b32 v40, v3, v0 offset0:119 offset1:136
	v_pack_b32_f16 v0, v7, v19
	v_lshrrev_b32_e32 v26, 16, v11
	v_fma_f16 v8, v8, 2.0, -v20
	v_fma_f16 v21, v21, 2.0, -v9
	ds_write_b32 v40, v0 offset:136
	v_pack_b32_f16 v0, v18, v6
	v_sub_f16_e32 v22, v11, v22
	v_sub_f16_e32 v10, v26, v10
	ds_write_b32 v46, v0 offset:476
	v_pack_b32_f16 v0, v8, v21
	v_lshrrev_b32_e32 v28, 16, v12
	v_fma_f16 v11, v11, 2.0, -v22
	v_fma_f16 v26, v26, 2.0, -v10
	ds_write_b32 v40, v0 offset:204
	v_pack_b32_f16 v0, v20, v9
	v_sub_f16_e32 v27, v12, v27
	v_sub_f16_e32 v13, v28, v13
	ds_write_b32 v45, v0 offset:476
	;; [unrolled: 9-line block ×3, first 2 shown]
	v_pack_b32_f16 v0, v12, v28
	v_fma_f16 v2, v2, 2.0, -v29
	v_fma_f16 v30, v30, 2.0, -v14
	ds_write_b32 v40, v0 offset:340
	v_pack_b32_f16 v0, v27, v13
	ds_write_b32 v43, v0 offset:476
	v_pack_b32_f16 v0, v2, v30
	;; [unrolled: 2-line block ×3, first 2 shown]
	ds_write_b32 v42, v0 offset:476
	s_waitcnt lgkmcnt(0)
	; wave barrier
	s_waitcnt lgkmcnt(0)
	s_and_b64 exec, exec, vcc
	s_cbranch_execz .LBB0_15
; %bb.14:
	global_load_dword v8, v24, s[6:7]
	v_mad_u64_u32 v[5:6], s[0:1], s8, v23, 0
	v_mad_u64_u32 v[1:2], s[0:1], s10, v4, 0
	ds_read_b32 v9, v40
	v_mov_b32_e32 v3, v6
	v_mad_u64_u32 v[6:7], s[0:1], s11, v4, v[2:3]
	v_mad_u64_u32 v[3:4], s[0:1], s9, v23, v[3:4]
	s_waitcnt lgkmcnt(0)
	v_lshrrev_b32_e32 v4, 16, v9
	v_mov_b32_e32 v2, v6
	v_mov_b32_e32 v6, v3
	s_mov_b32 s14, 0x1135c811
	s_mov_b32 s15, 0x3f7135c8
	v_lshlrev_b64 v[1:2], 2, v[1:2]
	v_mov_b32_e32 v10, s13
	v_lshlrev_b64 v[5:6], 2, v[5:6]
	v_add_co_u32_e32 v1, vcc, s12, v1
	v_addc_co_u32_e32 v2, vcc, v10, v2, vcc
	s_movk_i32 s16, 0x1ff
	v_add_co_u32_e32 v5, vcc, v1, v5
	v_addc_co_u32_e32 v6, vcc, v2, v6, vcc
	s_movk_i32 s10, 0xffe
	v_mov_b32_e32 v0, 0x7c00
	s_movk_i32 s18, 0x40f
	s_mov_b32 s17, 0x8000
	s_mul_hi_u32 s12, s8, 56
	s_mul_i32 s11, s8, 56
	s_waitcnt vmcnt(0)
	v_mul_f16_sdwa v3, v4, v8 dst_sel:DWORD dst_unused:UNUSED_PAD src0_sel:DWORD src1_sel:WORD_1
	v_fma_f16 v3, v9, v8, v3
	v_mul_f16_sdwa v7, v9, v8 dst_sel:DWORD dst_unused:UNUSED_PAD src0_sel:DWORD src1_sel:WORD_1
	v_cvt_f32_f16_e32 v3, v3
	v_fma_f16 v4, v8, v4, -v7
	v_cvt_f32_f16_e32 v7, v4
	v_cvt_f64_f32_e32 v[3:4], v3
	v_cvt_f64_f32_e32 v[7:8], v7
	v_mul_f64 v[3:4], v[3:4], s[14:15]
	v_mul_f64 v[7:8], v[7:8], s[14:15]
	v_and_or_b32 v3, v4, s16, v3
	v_cmp_ne_u32_e32 vcc, 0, v3
	v_and_or_b32 v7, v8, s16, v7
	v_lshrrev_b32_e32 v9, 8, v4
	v_bfe_u32 v10, v4, 20, 11
	v_cndmask_b32_e64 v3, 0, 1, vcc
	v_cmp_ne_u32_e32 vcc, 0, v7
	v_lshrrev_b32_e32 v11, 8, v8
	v_bfe_u32 v12, v8, 20, 11
	v_sub_u32_e32 v13, 0x3f1, v10
	v_cndmask_b32_e64 v7, 0, 1, vcc
	v_and_or_b32 v3, v9, s10, v3
	v_sub_u32_e32 v14, 0x3f1, v12
	v_med3_i32 v9, v13, 0, 13
	v_and_or_b32 v7, v11, s10, v7
	v_or_b32_e32 v13, 0x1000, v3
	v_add_u32_e32 v10, 0xfffffc10, v10
	v_med3_i32 v11, v14, 0, 13
	v_cmp_ne_u32_e32 vcc, 0, v3
	v_or_b32_e32 v15, 0x1000, v7
	v_lshrrev_b32_e32 v17, v9, v13
	v_add_u32_e32 v12, 0xfffffc10, v12
	v_lshl_or_b32 v14, v10, 12, v3
	v_cndmask_b32_e64 v3, 0, 1, vcc
	v_cmp_ne_u32_e32 vcc, 0, v7
	v_lshrrev_b32_e32 v18, v11, v15
	v_lshlrev_b32_e32 v9, v9, v17
	v_lshl_or_b32 v16, v12, 12, v7
	v_cndmask_b32_e64 v7, 0, 1, vcc
	v_lshlrev_b32_e32 v11, v11, v18
	v_cmp_ne_u32_e32 vcc, v9, v13
	v_cndmask_b32_e64 v9, 0, 1, vcc
	v_cmp_ne_u32_e32 vcc, v11, v15
	v_cndmask_b32_e64 v11, 0, 1, vcc
	v_or_b32_e32 v9, v17, v9
	v_cmp_gt_i32_e32 vcc, 1, v10
	v_cndmask_b32_e32 v9, v14, v9, vcc
	v_or_b32_e32 v11, v18, v11
	v_cmp_gt_i32_e32 vcc, 1, v12
	v_and_b32_e32 v13, 7, v9
	v_cndmask_b32_e32 v11, v16, v11, vcc
	v_cmp_lt_i32_e32 vcc, 5, v13
	v_cmp_eq_u32_e64 s[0:1], 3, v13
	v_lshrrev_b32_e32 v9, 2, v9
	v_and_b32_e32 v14, 7, v11
	s_or_b64 vcc, s[0:1], vcc
	v_cmp_lt_i32_e64 s[2:3], 5, v14
	v_cmp_eq_u32_e64 s[4:5], 3, v14
	v_addc_co_u32_e32 v9, vcc, 0, v9, vcc
	v_lshrrev_b32_e32 v11, 2, v11
	s_or_b64 vcc, s[4:5], s[2:3]
	v_addc_co_u32_e32 v11, vcc, 0, v11, vcc
	v_cmp_gt_i32_e32 vcc, 31, v10
	v_cndmask_b32_e32 v9, v0, v9, vcc
	v_cmp_gt_i32_e32 vcc, 31, v12
	v_lshl_or_b32 v3, v3, 9, v0
	v_cndmask_b32_e32 v11, v0, v11, vcc
	v_cmp_eq_u32_e32 vcc, s18, v10
	v_lshrrev_b32_e32 v4, 16, v4
	v_lshl_or_b32 v7, v7, 9, v0
	v_cndmask_b32_e32 v3, v9, v3, vcc
	v_cmp_eq_u32_e32 vcc, s18, v12
	v_lshrrev_b32_e32 v8, 16, v8
	v_cndmask_b32_e32 v7, v11, v7, vcc
	v_and_or_b32 v3, v4, s17, v3
	v_and_or_b32 v4, v8, s17, v7
	v_and_b32_e32 v3, 0xffff, v3
	v_lshl_or_b32 v3, v4, 16, v3
	global_store_dword v[5:6], v3, off
	global_load_dword v4, v24, s[6:7] offset:56
	v_lshl_add_u32 v3, v25, 2, v24
	ds_read2_b32 v[7:8], v3 offset0:14 offset1:28
	s_mul_i32 s0, s9, 56
	s_add_i32 s12, s12, s0
	s_waitcnt lgkmcnt(0)
	v_lshrrev_b32_e32 v9, 16, v7
	s_waitcnt vmcnt(0)
	v_mul_f16_sdwa v10, v9, v4 dst_sel:DWORD dst_unused:UNUSED_PAD src0_sel:DWORD src1_sel:WORD_1
	v_fma_f16 v10, v7, v4, v10
	v_mul_f16_sdwa v7, v7, v4 dst_sel:DWORD dst_unused:UNUSED_PAD src0_sel:DWORD src1_sel:WORD_1
	v_cvt_f32_f16_e32 v10, v10
	v_fma_f16 v4, v4, v9, -v7
	v_cvt_f32_f16_e32 v4, v4
	v_mov_b32_e32 v7, s12
	v_cvt_f64_f32_e32 v[9:10], v10
	v_cvt_f64_f32_e32 v[11:12], v4
	v_add_co_u32_e32 v4, vcc, s11, v5
	v_mul_f64 v[9:10], v[9:10], s[14:15]
	v_mul_f64 v[11:12], v[11:12], s[14:15]
	v_addc_co_u32_e32 v5, vcc, v6, v7, vcc
	v_and_or_b32 v6, v10, s16, v9
	v_and_or_b32 v11, v12, s16, v11
	v_cmp_ne_u32_e32 vcc, 0, v6
	v_lshrrev_b32_e32 v7, 8, v10
	v_bfe_u32 v9, v10, 20, 11
	v_cndmask_b32_e64 v6, 0, 1, vcc
	v_cmp_ne_u32_e32 vcc, 0, v11
	v_lshrrev_b32_e32 v13, 8, v12
	v_bfe_u32 v14, v12, 20, 11
	v_sub_u32_e32 v15, 0x3f1, v9
	v_cndmask_b32_e64 v11, 0, 1, vcc
	v_and_or_b32 v6, v7, s10, v6
	v_sub_u32_e32 v16, 0x3f1, v14
	v_med3_i32 v7, v15, 0, 13
	v_and_or_b32 v11, v13, s10, v11
	v_or_b32_e32 v15, 0x1000, v6
	v_add_u32_e32 v9, 0xfffffc10, v9
	v_med3_i32 v13, v16, 0, 13
	v_cmp_ne_u32_e32 vcc, 0, v6
	v_or_b32_e32 v17, 0x1000, v11
	v_lshrrev_b32_e32 v19, v7, v15
	v_add_u32_e32 v14, 0xfffffc10, v14
	v_lshl_or_b32 v16, v9, 12, v6
	v_cndmask_b32_e64 v6, 0, 1, vcc
	v_cmp_ne_u32_e32 vcc, 0, v11
	v_lshrrev_b32_e32 v20, v13, v17
	v_lshlrev_b32_e32 v7, v7, v19
	v_lshl_or_b32 v18, v14, 12, v11
	v_cndmask_b32_e64 v11, 0, 1, vcc
	v_lshlrev_b32_e32 v13, v13, v20
	v_cmp_ne_u32_e32 vcc, v7, v15
	v_cndmask_b32_e64 v7, 0, 1, vcc
	v_cmp_ne_u32_e32 vcc, v13, v17
	v_cndmask_b32_e64 v13, 0, 1, vcc
	v_or_b32_e32 v7, v19, v7
	v_cmp_gt_i32_e32 vcc, 1, v9
	v_cndmask_b32_e32 v7, v16, v7, vcc
	v_or_b32_e32 v13, v20, v13
	v_cmp_gt_i32_e32 vcc, 1, v14
	v_and_b32_e32 v15, 7, v7
	v_cndmask_b32_e32 v13, v18, v13, vcc
	v_cmp_lt_i32_e32 vcc, 5, v15
	v_cmp_eq_u32_e64 s[0:1], 3, v15
	v_lshrrev_b32_e32 v7, 2, v7
	v_and_b32_e32 v16, 7, v13
	s_or_b64 vcc, s[0:1], vcc
	v_cmp_lt_i32_e64 s[2:3], 5, v16
	v_cmp_eq_u32_e64 s[4:5], 3, v16
	v_addc_co_u32_e32 v7, vcc, 0, v7, vcc
	v_lshrrev_b32_e32 v13, 2, v13
	s_or_b64 vcc, s[4:5], s[2:3]
	v_addc_co_u32_e32 v13, vcc, 0, v13, vcc
	v_cmp_gt_i32_e32 vcc, 31, v9
	v_cndmask_b32_e32 v7, v0, v7, vcc
	v_cmp_gt_i32_e32 vcc, 31, v14
	v_lshl_or_b32 v6, v6, 9, v0
	v_cndmask_b32_e32 v13, v0, v13, vcc
	v_cmp_eq_u32_e32 vcc, s18, v9
	v_lshrrev_b32_e32 v10, 16, v10
	v_lshl_or_b32 v11, v11, 9, v0
	v_cndmask_b32_e32 v6, v7, v6, vcc
	v_cmp_eq_u32_e32 vcc, s18, v14
	v_lshrrev_b32_e32 v12, 16, v12
	v_cndmask_b32_e32 v7, v13, v11, vcc
	v_and_or_b32 v6, v10, s17, v6
	v_and_or_b32 v7, v12, s17, v7
	v_and_b32_e32 v6, 0xffff, v6
	v_lshl_or_b32 v6, v7, 16, v6
	global_store_dword v[4:5], v6, off
	global_load_dword v6, v24, s[6:7] offset:112
	v_lshrrev_b32_e32 v7, 16, v8
	v_mov_b32_e32 v10, s12
	v_add_co_u32_e32 v4, vcc, s11, v4
	v_addc_co_u32_e32 v5, vcc, v5, v10, vcc
	s_waitcnt vmcnt(0)
	v_mul_f16_sdwa v9, v7, v6 dst_sel:DWORD dst_unused:UNUSED_PAD src0_sel:DWORD src1_sel:WORD_1
	v_fma_f16 v9, v8, v6, v9
	v_mul_f16_sdwa v8, v8, v6 dst_sel:DWORD dst_unused:UNUSED_PAD src0_sel:DWORD src1_sel:WORD_1
	v_cvt_f32_f16_e32 v9, v9
	v_fma_f16 v6, v6, v7, -v8
	v_cvt_f32_f16_e32 v8, v6
	v_cvt_f64_f32_e32 v[6:7], v9
	v_cvt_f64_f32_e32 v[8:9], v8
	v_mul_f64 v[6:7], v[6:7], s[14:15]
	v_mul_f64 v[8:9], v[8:9], s[14:15]
	v_and_or_b32 v6, v7, s16, v6
	v_cmp_ne_u32_e32 vcc, 0, v6
	v_and_or_b32 v8, v9, s16, v8
	v_lshrrev_b32_e32 v10, 8, v7
	v_bfe_u32 v11, v7, 20, 11
	v_cndmask_b32_e64 v6, 0, 1, vcc
	v_cmp_ne_u32_e32 vcc, 0, v8
	v_lshrrev_b32_e32 v12, 8, v9
	v_bfe_u32 v13, v9, 20, 11
	v_sub_u32_e32 v14, 0x3f1, v11
	v_cndmask_b32_e64 v8, 0, 1, vcc
	v_and_or_b32 v6, v10, s10, v6
	v_sub_u32_e32 v15, 0x3f1, v13
	v_med3_i32 v10, v14, 0, 13
	v_and_or_b32 v8, v12, s10, v8
	v_or_b32_e32 v14, 0x1000, v6
	v_add_u32_e32 v11, 0xfffffc10, v11
	v_med3_i32 v12, v15, 0, 13
	v_cmp_ne_u32_e32 vcc, 0, v6
	v_or_b32_e32 v16, 0x1000, v8
	v_lshrrev_b32_e32 v18, v10, v14
	v_add_u32_e32 v13, 0xfffffc10, v13
	v_lshl_or_b32 v15, v11, 12, v6
	v_cndmask_b32_e64 v6, 0, 1, vcc
	v_cmp_ne_u32_e32 vcc, 0, v8
	v_lshrrev_b32_e32 v19, v12, v16
	v_lshlrev_b32_e32 v10, v10, v18
	v_lshl_or_b32 v17, v13, 12, v8
	v_cndmask_b32_e64 v8, 0, 1, vcc
	v_lshlrev_b32_e32 v12, v12, v19
	v_cmp_ne_u32_e32 vcc, v10, v14
	v_cndmask_b32_e64 v10, 0, 1, vcc
	v_cmp_ne_u32_e32 vcc, v12, v16
	v_cndmask_b32_e64 v12, 0, 1, vcc
	v_or_b32_e32 v10, v18, v10
	v_cmp_gt_i32_e32 vcc, 1, v11
	v_cndmask_b32_e32 v10, v15, v10, vcc
	v_or_b32_e32 v12, v19, v12
	v_cmp_gt_i32_e32 vcc, 1, v13
	v_and_b32_e32 v14, 7, v10
	v_cndmask_b32_e32 v12, v17, v12, vcc
	v_cmp_lt_i32_e32 vcc, 5, v14
	v_cmp_eq_u32_e64 s[0:1], 3, v14
	v_lshrrev_b32_e32 v10, 2, v10
	v_and_b32_e32 v15, 7, v12
	s_or_b64 vcc, s[0:1], vcc
	v_cmp_lt_i32_e64 s[2:3], 5, v15
	v_cmp_eq_u32_e64 s[4:5], 3, v15
	v_addc_co_u32_e32 v10, vcc, 0, v10, vcc
	v_lshrrev_b32_e32 v12, 2, v12
	s_or_b64 vcc, s[4:5], s[2:3]
	v_addc_co_u32_e32 v12, vcc, 0, v12, vcc
	v_cmp_gt_i32_e32 vcc, 31, v11
	v_cndmask_b32_e32 v10, v0, v10, vcc
	v_cmp_gt_i32_e32 vcc, 31, v13
	v_lshl_or_b32 v6, v6, 9, v0
	v_cndmask_b32_e32 v12, v0, v12, vcc
	v_cmp_eq_u32_e32 vcc, s18, v11
	v_lshrrev_b32_e32 v7, 16, v7
	v_lshl_or_b32 v8, v8, 9, v0
	v_cndmask_b32_e32 v6, v10, v6, vcc
	v_cmp_eq_u32_e32 vcc, s18, v13
	v_lshrrev_b32_e32 v9, 16, v9
	v_cndmask_b32_e32 v8, v12, v8, vcc
	v_and_or_b32 v6, v7, s17, v6
	v_and_or_b32 v7, v9, s17, v8
	v_and_b32_e32 v6, 0xffff, v6
	v_lshl_or_b32 v6, v7, 16, v6
	global_store_dword v[4:5], v6, off
	global_load_dword v8, v24, s[6:7] offset:168
	ds_read2_b32 v[6:7], v3 offset0:42 offset1:56
	v_add_co_u32_e32 v4, vcc, s11, v4
	s_waitcnt lgkmcnt(0)
	v_lshrrev_b32_e32 v9, 16, v6
	s_waitcnt vmcnt(0)
	v_mul_f16_sdwa v10, v9, v8 dst_sel:DWORD dst_unused:UNUSED_PAD src0_sel:DWORD src1_sel:WORD_1
	v_fma_f16 v10, v6, v8, v10
	v_mul_f16_sdwa v6, v6, v8 dst_sel:DWORD dst_unused:UNUSED_PAD src0_sel:DWORD src1_sel:WORD_1
	v_cvt_f32_f16_e32 v10, v10
	v_fma_f16 v6, v8, v9, -v6
	v_cvt_f32_f16_e32 v6, v6
	v_cvt_f64_f32_e32 v[8:9], v10
	v_cvt_f64_f32_e32 v[10:11], v6
	v_mov_b32_e32 v6, s12
	v_mul_f64 v[8:9], v[8:9], s[14:15]
	v_addc_co_u32_e32 v5, vcc, v5, v6, vcc
	v_mul_f64 v[10:11], v[10:11], s[14:15]
	v_and_or_b32 v6, v9, s16, v8
	v_cmp_ne_u32_e32 vcc, 0, v6
	v_lshrrev_b32_e32 v8, 8, v9
	v_and_or_b32 v10, v11, s16, v10
	v_bfe_u32 v12, v9, 20, 11
	v_cndmask_b32_e64 v6, 0, 1, vcc
	v_cmp_ne_u32_e32 vcc, 0, v10
	v_lshrrev_b32_e32 v13, 8, v11
	v_bfe_u32 v14, v11, 20, 11
	v_sub_u32_e32 v15, 0x3f1, v12
	v_cndmask_b32_e64 v10, 0, 1, vcc
	v_and_or_b32 v6, v8, s10, v6
	v_sub_u32_e32 v16, 0x3f1, v14
	v_med3_i32 v8, v15, 0, 13
	v_and_or_b32 v10, v13, s10, v10
	v_or_b32_e32 v15, 0x1000, v6
	v_add_u32_e32 v12, 0xfffffc10, v12
	v_med3_i32 v13, v16, 0, 13
	v_cmp_ne_u32_e32 vcc, 0, v6
	v_or_b32_e32 v17, 0x1000, v10
	v_lshrrev_b32_e32 v19, v8, v15
	v_add_u32_e32 v14, 0xfffffc10, v14
	v_lshl_or_b32 v16, v12, 12, v6
	v_cndmask_b32_e64 v6, 0, 1, vcc
	v_cmp_ne_u32_e32 vcc, 0, v10
	v_lshrrev_b32_e32 v20, v13, v17
	v_lshlrev_b32_e32 v8, v8, v19
	v_lshl_or_b32 v18, v14, 12, v10
	v_cndmask_b32_e64 v10, 0, 1, vcc
	v_lshlrev_b32_e32 v13, v13, v20
	v_cmp_ne_u32_e32 vcc, v8, v15
	v_cndmask_b32_e64 v8, 0, 1, vcc
	v_cmp_ne_u32_e32 vcc, v13, v17
	v_cndmask_b32_e64 v13, 0, 1, vcc
	v_or_b32_e32 v8, v19, v8
	v_cmp_gt_i32_e32 vcc, 1, v12
	v_cndmask_b32_e32 v8, v16, v8, vcc
	v_or_b32_e32 v13, v20, v13
	v_cmp_gt_i32_e32 vcc, 1, v14
	v_and_b32_e32 v15, 7, v8
	v_cndmask_b32_e32 v13, v18, v13, vcc
	v_cmp_lt_i32_e32 vcc, 5, v15
	v_cmp_eq_u32_e64 s[0:1], 3, v15
	v_lshrrev_b32_e32 v8, 2, v8
	v_and_b32_e32 v16, 7, v13
	s_or_b64 vcc, s[0:1], vcc
	v_cmp_lt_i32_e64 s[2:3], 5, v16
	v_cmp_eq_u32_e64 s[4:5], 3, v16
	v_addc_co_u32_e32 v8, vcc, 0, v8, vcc
	v_lshrrev_b32_e32 v13, 2, v13
	s_or_b64 vcc, s[4:5], s[2:3]
	v_addc_co_u32_e32 v13, vcc, 0, v13, vcc
	v_cmp_gt_i32_e32 vcc, 31, v12
	v_cndmask_b32_e32 v8, v0, v8, vcc
	v_cmp_gt_i32_e32 vcc, 31, v14
	v_lshl_or_b32 v6, v6, 9, v0
	v_cndmask_b32_e32 v13, v0, v13, vcc
	v_cmp_eq_u32_e32 vcc, s18, v12
	v_lshrrev_b32_e32 v9, 16, v9
	v_lshl_or_b32 v10, v10, 9, v0
	v_cndmask_b32_e32 v6, v8, v6, vcc
	v_cmp_eq_u32_e32 vcc, s18, v14
	v_lshrrev_b32_e32 v11, 16, v11
	v_cndmask_b32_e32 v8, v13, v10, vcc
	v_and_or_b32 v6, v9, s17, v6
	v_and_or_b32 v8, v11, s17, v8
	v_and_b32_e32 v6, 0xffff, v6
	v_lshl_or_b32 v6, v8, 16, v6
	global_store_dword v[4:5], v6, off
	global_load_dword v6, v24, s[6:7] offset:224
	v_lshrrev_b32_e32 v8, 16, v7
	v_mov_b32_e32 v10, s12
	v_add_co_u32_e32 v4, vcc, s11, v4
	v_addc_co_u32_e32 v5, vcc, v5, v10, vcc
	s_waitcnt vmcnt(0)
	v_mul_f16_sdwa v9, v8, v6 dst_sel:DWORD dst_unused:UNUSED_PAD src0_sel:DWORD src1_sel:WORD_1
	v_fma_f16 v9, v7, v6, v9
	v_mul_f16_sdwa v7, v7, v6 dst_sel:DWORD dst_unused:UNUSED_PAD src0_sel:DWORD src1_sel:WORD_1
	v_cvt_f32_f16_e32 v9, v9
	v_fma_f16 v6, v6, v8, -v7
	v_cvt_f32_f16_e32 v8, v6
	v_cvt_f64_f32_e32 v[6:7], v9
	v_cvt_f64_f32_e32 v[8:9], v8
	v_mul_f64 v[6:7], v[6:7], s[14:15]
	v_mul_f64 v[8:9], v[8:9], s[14:15]
	v_and_or_b32 v6, v7, s16, v6
	v_cmp_ne_u32_e32 vcc, 0, v6
	v_and_or_b32 v8, v9, s16, v8
	v_lshrrev_b32_e32 v10, 8, v7
	v_bfe_u32 v11, v7, 20, 11
	v_cndmask_b32_e64 v6, 0, 1, vcc
	v_cmp_ne_u32_e32 vcc, 0, v8
	v_lshrrev_b32_e32 v12, 8, v9
	v_bfe_u32 v13, v9, 20, 11
	v_sub_u32_e32 v14, 0x3f1, v11
	v_cndmask_b32_e64 v8, 0, 1, vcc
	v_and_or_b32 v6, v10, s10, v6
	v_sub_u32_e32 v15, 0x3f1, v13
	v_med3_i32 v10, v14, 0, 13
	v_and_or_b32 v8, v12, s10, v8
	v_or_b32_e32 v14, 0x1000, v6
	v_add_u32_e32 v11, 0xfffffc10, v11
	v_med3_i32 v12, v15, 0, 13
	v_cmp_ne_u32_e32 vcc, 0, v6
	v_or_b32_e32 v16, 0x1000, v8
	v_lshrrev_b32_e32 v18, v10, v14
	v_add_u32_e32 v13, 0xfffffc10, v13
	v_lshl_or_b32 v15, v11, 12, v6
	v_cndmask_b32_e64 v6, 0, 1, vcc
	v_cmp_ne_u32_e32 vcc, 0, v8
	v_lshrrev_b32_e32 v19, v12, v16
	v_lshlrev_b32_e32 v10, v10, v18
	v_lshl_or_b32 v17, v13, 12, v8
	v_cndmask_b32_e64 v8, 0, 1, vcc
	v_lshlrev_b32_e32 v12, v12, v19
	v_cmp_ne_u32_e32 vcc, v10, v14
	v_cndmask_b32_e64 v10, 0, 1, vcc
	v_cmp_ne_u32_e32 vcc, v12, v16
	v_cndmask_b32_e64 v12, 0, 1, vcc
	v_or_b32_e32 v10, v18, v10
	v_cmp_gt_i32_e32 vcc, 1, v11
	v_cndmask_b32_e32 v10, v15, v10, vcc
	v_or_b32_e32 v12, v19, v12
	v_cmp_gt_i32_e32 vcc, 1, v13
	v_and_b32_e32 v14, 7, v10
	v_cndmask_b32_e32 v12, v17, v12, vcc
	v_cmp_lt_i32_e32 vcc, 5, v14
	v_cmp_eq_u32_e64 s[0:1], 3, v14
	v_lshrrev_b32_e32 v10, 2, v10
	v_and_b32_e32 v15, 7, v12
	s_or_b64 vcc, s[0:1], vcc
	v_cmp_lt_i32_e64 s[2:3], 5, v15
	v_cmp_eq_u32_e64 s[4:5], 3, v15
	v_addc_co_u32_e32 v10, vcc, 0, v10, vcc
	v_lshrrev_b32_e32 v12, 2, v12
	s_or_b64 vcc, s[4:5], s[2:3]
	v_addc_co_u32_e32 v12, vcc, 0, v12, vcc
	v_cmp_gt_i32_e32 vcc, 31, v11
	v_cndmask_b32_e32 v10, v0, v10, vcc
	v_cmp_gt_i32_e32 vcc, 31, v13
	v_lshl_or_b32 v6, v6, 9, v0
	v_cndmask_b32_e32 v12, v0, v12, vcc
	v_cmp_eq_u32_e32 vcc, s18, v11
	v_lshrrev_b32_e32 v7, 16, v7
	v_lshl_or_b32 v8, v8, 9, v0
	v_cndmask_b32_e32 v6, v10, v6, vcc
	v_cmp_eq_u32_e32 vcc, s18, v13
	v_lshrrev_b32_e32 v9, 16, v9
	v_cndmask_b32_e32 v8, v12, v8, vcc
	v_and_or_b32 v6, v7, s17, v6
	v_and_or_b32 v7, v9, s17, v8
	v_and_b32_e32 v6, 0xffff, v6
	v_lshl_or_b32 v6, v7, 16, v6
	global_store_dword v[4:5], v6, off
	global_load_dword v8, v24, s[6:7] offset:280
	ds_read2_b32 v[6:7], v3 offset0:70 offset1:84
	v_add_co_u32_e32 v4, vcc, s11, v4
	s_waitcnt lgkmcnt(0)
	v_lshrrev_b32_e32 v9, 16, v6
	s_waitcnt vmcnt(0)
	v_mul_f16_sdwa v10, v9, v8 dst_sel:DWORD dst_unused:UNUSED_PAD src0_sel:DWORD src1_sel:WORD_1
	v_fma_f16 v10, v6, v8, v10
	v_mul_f16_sdwa v6, v6, v8 dst_sel:DWORD dst_unused:UNUSED_PAD src0_sel:DWORD src1_sel:WORD_1
	v_cvt_f32_f16_e32 v10, v10
	v_fma_f16 v6, v8, v9, -v6
	v_cvt_f32_f16_e32 v6, v6
	v_cvt_f64_f32_e32 v[8:9], v10
	v_cvt_f64_f32_e32 v[10:11], v6
	v_mov_b32_e32 v6, s12
	v_mul_f64 v[8:9], v[8:9], s[14:15]
	v_addc_co_u32_e32 v5, vcc, v5, v6, vcc
	v_mul_f64 v[10:11], v[10:11], s[14:15]
	v_and_or_b32 v6, v9, s16, v8
	v_cmp_ne_u32_e32 vcc, 0, v6
	v_lshrrev_b32_e32 v8, 8, v9
	v_and_or_b32 v10, v11, s16, v10
	v_bfe_u32 v12, v9, 20, 11
	v_cndmask_b32_e64 v6, 0, 1, vcc
	v_cmp_ne_u32_e32 vcc, 0, v10
	v_lshrrev_b32_e32 v13, 8, v11
	v_bfe_u32 v14, v11, 20, 11
	v_sub_u32_e32 v15, 0x3f1, v12
	v_cndmask_b32_e64 v10, 0, 1, vcc
	v_and_or_b32 v6, v8, s10, v6
	v_sub_u32_e32 v16, 0x3f1, v14
	v_med3_i32 v8, v15, 0, 13
	v_and_or_b32 v10, v13, s10, v10
	v_or_b32_e32 v15, 0x1000, v6
	v_add_u32_e32 v12, 0xfffffc10, v12
	v_med3_i32 v13, v16, 0, 13
	v_cmp_ne_u32_e32 vcc, 0, v6
	v_or_b32_e32 v17, 0x1000, v10
	v_lshrrev_b32_e32 v19, v8, v15
	v_add_u32_e32 v14, 0xfffffc10, v14
	v_lshl_or_b32 v16, v12, 12, v6
	v_cndmask_b32_e64 v6, 0, 1, vcc
	v_cmp_ne_u32_e32 vcc, 0, v10
	v_lshrrev_b32_e32 v20, v13, v17
	v_lshlrev_b32_e32 v8, v8, v19
	v_lshl_or_b32 v18, v14, 12, v10
	v_cndmask_b32_e64 v10, 0, 1, vcc
	v_lshlrev_b32_e32 v13, v13, v20
	v_cmp_ne_u32_e32 vcc, v8, v15
	v_cndmask_b32_e64 v8, 0, 1, vcc
	v_cmp_ne_u32_e32 vcc, v13, v17
	v_cndmask_b32_e64 v13, 0, 1, vcc
	v_or_b32_e32 v8, v19, v8
	v_cmp_gt_i32_e32 vcc, 1, v12
	v_cndmask_b32_e32 v8, v16, v8, vcc
	v_or_b32_e32 v13, v20, v13
	v_cmp_gt_i32_e32 vcc, 1, v14
	v_and_b32_e32 v15, 7, v8
	v_cndmask_b32_e32 v13, v18, v13, vcc
	v_cmp_lt_i32_e32 vcc, 5, v15
	v_cmp_eq_u32_e64 s[0:1], 3, v15
	v_lshrrev_b32_e32 v8, 2, v8
	v_and_b32_e32 v16, 7, v13
	s_or_b64 vcc, s[0:1], vcc
	v_cmp_lt_i32_e64 s[2:3], 5, v16
	v_cmp_eq_u32_e64 s[4:5], 3, v16
	v_addc_co_u32_e32 v8, vcc, 0, v8, vcc
	v_lshrrev_b32_e32 v13, 2, v13
	s_or_b64 vcc, s[4:5], s[2:3]
	v_addc_co_u32_e32 v13, vcc, 0, v13, vcc
	v_cmp_gt_i32_e32 vcc, 31, v12
	v_cndmask_b32_e32 v8, v0, v8, vcc
	v_cmp_gt_i32_e32 vcc, 31, v14
	v_lshl_or_b32 v6, v6, 9, v0
	v_cndmask_b32_e32 v13, v0, v13, vcc
	v_cmp_eq_u32_e32 vcc, s18, v12
	v_lshrrev_b32_e32 v9, 16, v9
	v_lshl_or_b32 v10, v10, 9, v0
	v_cndmask_b32_e32 v6, v8, v6, vcc
	v_cmp_eq_u32_e32 vcc, s18, v14
	v_lshrrev_b32_e32 v11, 16, v11
	v_cndmask_b32_e32 v8, v13, v10, vcc
	v_and_or_b32 v6, v9, s17, v6
	v_and_or_b32 v8, v11, s17, v8
	v_and_b32_e32 v6, 0xffff, v6
	v_lshl_or_b32 v6, v8, 16, v6
	global_store_dword v[4:5], v6, off
	global_load_dword v6, v24, s[6:7] offset:336
	v_lshrrev_b32_e32 v8, 16, v7
	v_mov_b32_e32 v10, s12
	v_add_co_u32_e32 v4, vcc, s11, v4
	v_addc_co_u32_e32 v5, vcc, v5, v10, vcc
	s_waitcnt vmcnt(0)
	v_mul_f16_sdwa v9, v8, v6 dst_sel:DWORD dst_unused:UNUSED_PAD src0_sel:DWORD src1_sel:WORD_1
	v_fma_f16 v9, v7, v6, v9
	v_mul_f16_sdwa v7, v7, v6 dst_sel:DWORD dst_unused:UNUSED_PAD src0_sel:DWORD src1_sel:WORD_1
	v_cvt_f32_f16_e32 v9, v9
	v_fma_f16 v6, v6, v8, -v7
	v_cvt_f32_f16_e32 v8, v6
	v_cvt_f64_f32_e32 v[6:7], v9
	v_cvt_f64_f32_e32 v[8:9], v8
	v_mul_f64 v[6:7], v[6:7], s[14:15]
	v_mul_f64 v[8:9], v[8:9], s[14:15]
	v_and_or_b32 v6, v7, s16, v6
	v_cmp_ne_u32_e32 vcc, 0, v6
	v_and_or_b32 v8, v9, s16, v8
	v_lshrrev_b32_e32 v10, 8, v7
	v_bfe_u32 v11, v7, 20, 11
	v_cndmask_b32_e64 v6, 0, 1, vcc
	v_cmp_ne_u32_e32 vcc, 0, v8
	v_lshrrev_b32_e32 v12, 8, v9
	v_bfe_u32 v13, v9, 20, 11
	v_sub_u32_e32 v14, 0x3f1, v11
	v_cndmask_b32_e64 v8, 0, 1, vcc
	v_and_or_b32 v6, v10, s10, v6
	v_sub_u32_e32 v15, 0x3f1, v13
	v_med3_i32 v10, v14, 0, 13
	v_and_or_b32 v8, v12, s10, v8
	v_or_b32_e32 v14, 0x1000, v6
	v_add_u32_e32 v11, 0xfffffc10, v11
	v_med3_i32 v12, v15, 0, 13
	v_cmp_ne_u32_e32 vcc, 0, v6
	v_or_b32_e32 v16, 0x1000, v8
	v_lshrrev_b32_e32 v18, v10, v14
	v_add_u32_e32 v13, 0xfffffc10, v13
	v_lshl_or_b32 v15, v11, 12, v6
	v_cndmask_b32_e64 v6, 0, 1, vcc
	v_cmp_ne_u32_e32 vcc, 0, v8
	v_lshrrev_b32_e32 v19, v12, v16
	v_lshlrev_b32_e32 v10, v10, v18
	v_lshl_or_b32 v17, v13, 12, v8
	v_cndmask_b32_e64 v8, 0, 1, vcc
	v_lshlrev_b32_e32 v12, v12, v19
	v_cmp_ne_u32_e32 vcc, v10, v14
	v_cndmask_b32_e64 v10, 0, 1, vcc
	v_cmp_ne_u32_e32 vcc, v12, v16
	v_cndmask_b32_e64 v12, 0, 1, vcc
	v_or_b32_e32 v10, v18, v10
	v_cmp_gt_i32_e32 vcc, 1, v11
	v_cndmask_b32_e32 v10, v15, v10, vcc
	v_or_b32_e32 v12, v19, v12
	v_cmp_gt_i32_e32 vcc, 1, v13
	v_and_b32_e32 v14, 7, v10
	v_cndmask_b32_e32 v12, v17, v12, vcc
	v_cmp_lt_i32_e32 vcc, 5, v14
	v_cmp_eq_u32_e64 s[0:1], 3, v14
	v_lshrrev_b32_e32 v10, 2, v10
	v_and_b32_e32 v15, 7, v12
	s_or_b64 vcc, s[0:1], vcc
	v_cmp_lt_i32_e64 s[2:3], 5, v15
	v_cmp_eq_u32_e64 s[4:5], 3, v15
	v_addc_co_u32_e32 v10, vcc, 0, v10, vcc
	v_lshrrev_b32_e32 v12, 2, v12
	s_or_b64 vcc, s[4:5], s[2:3]
	v_addc_co_u32_e32 v12, vcc, 0, v12, vcc
	v_cmp_gt_i32_e32 vcc, 31, v11
	v_cndmask_b32_e32 v10, v0, v10, vcc
	v_cmp_gt_i32_e32 vcc, 31, v13
	v_lshl_or_b32 v6, v6, 9, v0
	v_cndmask_b32_e32 v12, v0, v12, vcc
	v_cmp_eq_u32_e32 vcc, s18, v11
	v_lshrrev_b32_e32 v7, 16, v7
	v_lshl_or_b32 v8, v8, 9, v0
	v_cndmask_b32_e32 v6, v10, v6, vcc
	v_cmp_eq_u32_e32 vcc, s18, v13
	v_lshrrev_b32_e32 v9, 16, v9
	v_cndmask_b32_e32 v8, v12, v8, vcc
	v_and_or_b32 v6, v7, s17, v6
	v_and_or_b32 v7, v9, s17, v8
	v_and_b32_e32 v6, 0xffff, v6
	v_lshl_or_b32 v6, v7, 16, v6
	global_store_dword v[4:5], v6, off
	global_load_dword v8, v24, s[6:7] offset:392
	ds_read2_b32 v[6:7], v3 offset0:98 offset1:112
	v_add_co_u32_e32 v4, vcc, s11, v4
	s_waitcnt lgkmcnt(0)
	v_lshrrev_b32_e32 v9, 16, v6
	s_waitcnt vmcnt(0)
	v_mul_f16_sdwa v10, v9, v8 dst_sel:DWORD dst_unused:UNUSED_PAD src0_sel:DWORD src1_sel:WORD_1
	v_fma_f16 v10, v6, v8, v10
	v_mul_f16_sdwa v6, v6, v8 dst_sel:DWORD dst_unused:UNUSED_PAD src0_sel:DWORD src1_sel:WORD_1
	v_cvt_f32_f16_e32 v10, v10
	v_fma_f16 v6, v8, v9, -v6
	v_cvt_f32_f16_e32 v6, v6
	v_cvt_f64_f32_e32 v[8:9], v10
	v_cvt_f64_f32_e32 v[10:11], v6
	v_mov_b32_e32 v6, s12
	v_mul_f64 v[8:9], v[8:9], s[14:15]
	v_addc_co_u32_e32 v5, vcc, v5, v6, vcc
	v_mul_f64 v[10:11], v[10:11], s[14:15]
	v_and_or_b32 v6, v9, s16, v8
	v_cmp_ne_u32_e32 vcc, 0, v6
	v_lshrrev_b32_e32 v8, 8, v9
	v_and_or_b32 v10, v11, s16, v10
	v_bfe_u32 v12, v9, 20, 11
	v_cndmask_b32_e64 v6, 0, 1, vcc
	v_cmp_ne_u32_e32 vcc, 0, v10
	v_lshrrev_b32_e32 v13, 8, v11
	v_bfe_u32 v14, v11, 20, 11
	v_sub_u32_e32 v15, 0x3f1, v12
	v_cndmask_b32_e64 v10, 0, 1, vcc
	v_and_or_b32 v6, v8, s10, v6
	v_sub_u32_e32 v16, 0x3f1, v14
	v_med3_i32 v8, v15, 0, 13
	v_and_or_b32 v10, v13, s10, v10
	v_or_b32_e32 v15, 0x1000, v6
	v_add_u32_e32 v12, 0xfffffc10, v12
	v_med3_i32 v13, v16, 0, 13
	v_cmp_ne_u32_e32 vcc, 0, v6
	v_or_b32_e32 v17, 0x1000, v10
	v_lshrrev_b32_e32 v19, v8, v15
	v_add_u32_e32 v14, 0xfffffc10, v14
	v_lshl_or_b32 v16, v12, 12, v6
	v_cndmask_b32_e64 v6, 0, 1, vcc
	v_cmp_ne_u32_e32 vcc, 0, v10
	v_lshrrev_b32_e32 v20, v13, v17
	v_lshlrev_b32_e32 v8, v8, v19
	v_lshl_or_b32 v18, v14, 12, v10
	v_cndmask_b32_e64 v10, 0, 1, vcc
	v_lshlrev_b32_e32 v13, v13, v20
	v_cmp_ne_u32_e32 vcc, v8, v15
	v_cndmask_b32_e64 v8, 0, 1, vcc
	v_cmp_ne_u32_e32 vcc, v13, v17
	v_cndmask_b32_e64 v13, 0, 1, vcc
	v_or_b32_e32 v8, v19, v8
	v_cmp_gt_i32_e32 vcc, 1, v12
	v_cndmask_b32_e32 v8, v16, v8, vcc
	v_or_b32_e32 v13, v20, v13
	v_cmp_gt_i32_e32 vcc, 1, v14
	v_and_b32_e32 v15, 7, v8
	v_cndmask_b32_e32 v13, v18, v13, vcc
	v_cmp_lt_i32_e32 vcc, 5, v15
	v_cmp_eq_u32_e64 s[0:1], 3, v15
	v_lshrrev_b32_e32 v8, 2, v8
	v_and_b32_e32 v16, 7, v13
	s_or_b64 vcc, s[0:1], vcc
	v_cmp_lt_i32_e64 s[2:3], 5, v16
	v_cmp_eq_u32_e64 s[4:5], 3, v16
	v_addc_co_u32_e32 v8, vcc, 0, v8, vcc
	v_lshrrev_b32_e32 v13, 2, v13
	s_or_b64 vcc, s[4:5], s[2:3]
	v_addc_co_u32_e32 v13, vcc, 0, v13, vcc
	v_cmp_gt_i32_e32 vcc, 31, v12
	v_cndmask_b32_e32 v8, v0, v8, vcc
	v_cmp_gt_i32_e32 vcc, 31, v14
	v_lshl_or_b32 v6, v6, 9, v0
	v_cndmask_b32_e32 v13, v0, v13, vcc
	v_cmp_eq_u32_e32 vcc, s18, v12
	v_lshrrev_b32_e32 v9, 16, v9
	v_lshl_or_b32 v10, v10, 9, v0
	v_cndmask_b32_e32 v6, v8, v6, vcc
	v_cmp_eq_u32_e32 vcc, s18, v14
	v_lshrrev_b32_e32 v11, 16, v11
	v_cndmask_b32_e32 v8, v13, v10, vcc
	v_and_or_b32 v6, v9, s17, v6
	v_and_or_b32 v8, v11, s17, v8
	v_and_b32_e32 v6, 0xffff, v6
	v_lshl_or_b32 v6, v8, 16, v6
	global_store_dword v[4:5], v6, off
	global_load_dword v10, v24, s[6:7] offset:448
	v_or_b32_e32 v11, 0x70, v23
	v_mad_u64_u32 v[8:9], s[0:1], s8, v11, 0
	v_mov_b32_e32 v6, v9
	v_lshrrev_b32_e32 v9, 16, v7
	s_waitcnt vmcnt(0)
	v_mul_f16_sdwa v12, v9, v10 dst_sel:DWORD dst_unused:UNUSED_PAD src0_sel:DWORD src1_sel:WORD_1
	v_fma_f16 v12, v7, v10, v12
	v_mul_f16_sdwa v7, v7, v10 dst_sel:DWORD dst_unused:UNUSED_PAD src0_sel:DWORD src1_sel:WORD_1
	v_cvt_f32_f16_e32 v12, v12
	v_fma_f16 v7, v10, v9, -v7
	v_cvt_f32_f16_e32 v13, v7
	v_mad_u64_u32 v[6:7], s[0:1], s9, v11, v[6:7]
	v_cvt_f64_f32_e32 v[9:10], v12
	v_cvt_f64_f32_e32 v[11:12], v13
	v_mul_f64 v[13:14], v[9:10], s[14:15]
	v_mov_b32_e32 v9, v6
	v_lshlrev_b64 v[6:7], 2, v[8:9]
	v_mul_f64 v[8:9], v[11:12], s[14:15]
	v_add_co_u32_e32 v6, vcc, v1, v6
	v_addc_co_u32_e32 v7, vcc, v2, v7, vcc
	v_and_or_b32 v10, v14, s16, v13
	v_cmp_ne_u32_e32 vcc, 0, v10
	v_lshrrev_b32_e32 v11, 8, v14
	v_and_or_b32 v8, v9, s16, v8
	v_bfe_u32 v12, v14, 20, 11
	v_cndmask_b32_e64 v10, 0, 1, vcc
	v_cmp_ne_u32_e32 vcc, 0, v8
	v_lshrrev_b32_e32 v13, 16, v14
	v_lshrrev_b32_e32 v14, 8, v9
	v_bfe_u32 v15, v9, 20, 11
	v_sub_u32_e32 v16, 0x3f1, v12
	v_cndmask_b32_e64 v8, 0, 1, vcc
	v_and_or_b32 v10, v11, s10, v10
	v_sub_u32_e32 v17, 0x3f1, v15
	v_med3_i32 v11, v16, 0, 13
	v_and_or_b32 v8, v14, s10, v8
	v_or_b32_e32 v16, 0x1000, v10
	v_add_u32_e32 v12, 0xfffffc10, v12
	v_med3_i32 v14, v17, 0, 13
	v_cmp_ne_u32_e32 vcc, 0, v10
	v_or_b32_e32 v18, 0x1000, v8
	v_lshrrev_b32_e32 v20, v11, v16
	v_add_u32_e32 v15, 0xfffffc10, v15
	v_lshl_or_b32 v17, v12, 12, v10
	v_cndmask_b32_e64 v10, 0, 1, vcc
	v_cmp_ne_u32_e32 vcc, 0, v8
	v_lshrrev_b32_e32 v21, v14, v18
	v_lshlrev_b32_e32 v11, v11, v20
	v_lshl_or_b32 v19, v15, 12, v8
	v_cndmask_b32_e64 v8, 0, 1, vcc
	v_lshlrev_b32_e32 v14, v14, v21
	v_cmp_ne_u32_e32 vcc, v11, v16
	v_cndmask_b32_e64 v11, 0, 1, vcc
	v_cmp_ne_u32_e32 vcc, v14, v18
	v_cndmask_b32_e64 v14, 0, 1, vcc
	v_or_b32_e32 v11, v20, v11
	v_cmp_gt_i32_e32 vcc, 1, v12
	v_cndmask_b32_e32 v11, v17, v11, vcc
	v_or_b32_e32 v14, v21, v14
	v_cmp_gt_i32_e32 vcc, 1, v15
	v_and_b32_e32 v16, 7, v11
	v_cndmask_b32_e32 v14, v19, v14, vcc
	v_cmp_lt_i32_e32 vcc, 5, v16
	v_cmp_eq_u32_e64 s[0:1], 3, v16
	v_lshrrev_b32_e32 v11, 2, v11
	v_and_b32_e32 v17, 7, v14
	s_or_b64 vcc, s[0:1], vcc
	v_cmp_lt_i32_e64 s[2:3], 5, v17
	v_cmp_eq_u32_e64 s[4:5], 3, v17
	v_addc_co_u32_e32 v11, vcc, 0, v11, vcc
	v_lshrrev_b32_e32 v14, 2, v14
	s_or_b64 vcc, s[4:5], s[2:3]
	v_addc_co_u32_e32 v14, vcc, 0, v14, vcc
	v_cmp_gt_i32_e32 vcc, 31, v12
	v_cndmask_b32_e32 v11, v0, v11, vcc
	v_cmp_gt_i32_e32 vcc, 31, v15
	v_lshl_or_b32 v10, v10, 9, v0
	v_cndmask_b32_e32 v14, v0, v14, vcc
	v_cmp_eq_u32_e32 vcc, s18, v12
	v_lshl_or_b32 v8, v8, 9, v0
	v_cndmask_b32_e32 v10, v11, v10, vcc
	v_cmp_eq_u32_e32 vcc, s18, v15
	v_lshrrev_b32_e32 v9, 16, v9
	v_cndmask_b32_e32 v8, v14, v8, vcc
	v_and_or_b32 v10, v13, s17, v10
	v_and_or_b32 v8, v9, s17, v8
	v_and_b32_e32 v9, 0xffff, v10
	v_lshl_or_b32 v8, v8, 16, v9
	global_store_dword v[6:7], v8, off
	global_load_dword v8, v24, s[6:7] offset:504
	ds_read2_b32 v[6:7], v3 offset0:126 offset1:140
	s_waitcnt lgkmcnt(0)
	v_lshrrev_b32_e32 v9, 16, v6
	s_waitcnt vmcnt(0)
	v_mul_f16_sdwa v10, v9, v8 dst_sel:DWORD dst_unused:UNUSED_PAD src0_sel:DWORD src1_sel:WORD_1
	v_fma_f16 v10, v6, v8, v10
	v_mul_f16_sdwa v6, v6, v8 dst_sel:DWORD dst_unused:UNUSED_PAD src0_sel:DWORD src1_sel:WORD_1
	v_cvt_f32_f16_e32 v10, v10
	v_fma_f16 v6, v8, v9, -v6
	v_cvt_f32_f16_e32 v6, v6
	v_cvt_f64_f32_e32 v[8:9], v10
	v_cvt_f64_f32_e32 v[10:11], v6
	v_mov_b32_e32 v6, 0x70
	v_mul_f64 v[8:9], v[8:9], s[14:15]
	v_mad_u64_u32 v[4:5], s[0:1], s8, v6, v[4:5]
	v_mul_f64 v[10:11], v[10:11], s[14:15]
	s_mul_i32 s0, s9, 0x70
	v_add_u32_e32 v5, s0, v5
	v_and_or_b32 v6, v9, s16, v8
	v_cmp_ne_u32_e32 vcc, 0, v6
	v_lshrrev_b32_e32 v8, 8, v9
	v_and_or_b32 v10, v11, s16, v10
	v_bfe_u32 v12, v9, 20, 11
	v_cndmask_b32_e64 v6, 0, 1, vcc
	v_cmp_ne_u32_e32 vcc, 0, v10
	v_lshrrev_b32_e32 v13, 8, v11
	v_bfe_u32 v14, v11, 20, 11
	v_sub_u32_e32 v15, 0x3f1, v12
	v_cndmask_b32_e64 v10, 0, 1, vcc
	v_and_or_b32 v6, v8, s10, v6
	v_sub_u32_e32 v16, 0x3f1, v14
	v_med3_i32 v8, v15, 0, 13
	v_and_or_b32 v10, v13, s10, v10
	v_or_b32_e32 v15, 0x1000, v6
	v_add_u32_e32 v12, 0xfffffc10, v12
	v_med3_i32 v13, v16, 0, 13
	v_cmp_ne_u32_e32 vcc, 0, v6
	v_or_b32_e32 v17, 0x1000, v10
	v_lshrrev_b32_e32 v19, v8, v15
	v_add_u32_e32 v14, 0xfffffc10, v14
	v_lshl_or_b32 v16, v12, 12, v6
	v_cndmask_b32_e64 v6, 0, 1, vcc
	v_cmp_ne_u32_e32 vcc, 0, v10
	v_lshrrev_b32_e32 v20, v13, v17
	v_lshlrev_b32_e32 v8, v8, v19
	v_lshl_or_b32 v18, v14, 12, v10
	v_cndmask_b32_e64 v10, 0, 1, vcc
	v_lshlrev_b32_e32 v13, v13, v20
	v_cmp_ne_u32_e32 vcc, v8, v15
	v_cndmask_b32_e64 v8, 0, 1, vcc
	v_cmp_ne_u32_e32 vcc, v13, v17
	v_cndmask_b32_e64 v13, 0, 1, vcc
	v_or_b32_e32 v8, v19, v8
	v_cmp_gt_i32_e32 vcc, 1, v12
	v_cndmask_b32_e32 v8, v16, v8, vcc
	v_or_b32_e32 v13, v20, v13
	v_cmp_gt_i32_e32 vcc, 1, v14
	v_and_b32_e32 v15, 7, v8
	v_cndmask_b32_e32 v13, v18, v13, vcc
	v_cmp_lt_i32_e32 vcc, 5, v15
	v_cmp_eq_u32_e64 s[0:1], 3, v15
	v_lshrrev_b32_e32 v8, 2, v8
	v_and_b32_e32 v16, 7, v13
	s_or_b64 vcc, s[0:1], vcc
	v_cmp_lt_i32_e64 s[2:3], 5, v16
	v_cmp_eq_u32_e64 s[4:5], 3, v16
	v_addc_co_u32_e32 v8, vcc, 0, v8, vcc
	v_lshrrev_b32_e32 v13, 2, v13
	s_or_b64 vcc, s[4:5], s[2:3]
	v_addc_co_u32_e32 v13, vcc, 0, v13, vcc
	v_cmp_gt_i32_e32 vcc, 31, v12
	v_cndmask_b32_e32 v8, v0, v8, vcc
	v_cmp_gt_i32_e32 vcc, 31, v14
	v_lshl_or_b32 v6, v6, 9, v0
	v_cndmask_b32_e32 v13, v0, v13, vcc
	v_cmp_eq_u32_e32 vcc, s18, v12
	v_lshrrev_b32_e32 v9, 16, v9
	v_lshl_or_b32 v10, v10, 9, v0
	v_cndmask_b32_e32 v6, v8, v6, vcc
	v_cmp_eq_u32_e32 vcc, s18, v14
	v_lshrrev_b32_e32 v11, 16, v11
	v_cndmask_b32_e32 v8, v13, v10, vcc
	v_and_or_b32 v6, v9, s17, v6
	v_and_or_b32 v8, v11, s17, v8
	v_and_b32_e32 v6, 0xffff, v6
	v_lshl_or_b32 v6, v8, 16, v6
	global_store_dword v[4:5], v6, off
	global_load_dword v6, v24, s[6:7] offset:560
	v_lshrrev_b32_e32 v8, 16, v7
	v_mov_b32_e32 v10, s12
	v_add_co_u32_e32 v4, vcc, s11, v4
	v_addc_co_u32_e32 v5, vcc, v5, v10, vcc
	s_waitcnt vmcnt(0)
	v_mul_f16_sdwa v9, v8, v6 dst_sel:DWORD dst_unused:UNUSED_PAD src0_sel:DWORD src1_sel:WORD_1
	v_fma_f16 v9, v7, v6, v9
	v_mul_f16_sdwa v7, v7, v6 dst_sel:DWORD dst_unused:UNUSED_PAD src0_sel:DWORD src1_sel:WORD_1
	v_cvt_f32_f16_e32 v9, v9
	v_fma_f16 v6, v6, v8, -v7
	v_cvt_f32_f16_e32 v8, v6
	v_cvt_f64_f32_e32 v[6:7], v9
	v_cvt_f64_f32_e32 v[8:9], v8
	v_mul_f64 v[6:7], v[6:7], s[14:15]
	v_mul_f64 v[8:9], v[8:9], s[14:15]
	v_and_or_b32 v6, v7, s16, v6
	v_cmp_ne_u32_e32 vcc, 0, v6
	v_and_or_b32 v8, v9, s16, v8
	v_lshrrev_b32_e32 v10, 8, v7
	v_bfe_u32 v11, v7, 20, 11
	v_cndmask_b32_e64 v6, 0, 1, vcc
	v_cmp_ne_u32_e32 vcc, 0, v8
	v_lshrrev_b32_e32 v12, 8, v9
	v_bfe_u32 v13, v9, 20, 11
	v_sub_u32_e32 v14, 0x3f1, v11
	v_cndmask_b32_e64 v8, 0, 1, vcc
	v_and_or_b32 v6, v10, s10, v6
	v_sub_u32_e32 v15, 0x3f1, v13
	v_med3_i32 v10, v14, 0, 13
	v_and_or_b32 v8, v12, s10, v8
	v_or_b32_e32 v14, 0x1000, v6
	v_add_u32_e32 v11, 0xfffffc10, v11
	v_med3_i32 v12, v15, 0, 13
	v_cmp_ne_u32_e32 vcc, 0, v6
	v_or_b32_e32 v16, 0x1000, v8
	v_lshrrev_b32_e32 v18, v10, v14
	v_add_u32_e32 v13, 0xfffffc10, v13
	v_lshl_or_b32 v15, v11, 12, v6
	v_cndmask_b32_e64 v6, 0, 1, vcc
	v_cmp_ne_u32_e32 vcc, 0, v8
	v_lshrrev_b32_e32 v19, v12, v16
	v_lshlrev_b32_e32 v10, v10, v18
	v_lshl_or_b32 v17, v13, 12, v8
	v_cndmask_b32_e64 v8, 0, 1, vcc
	v_lshlrev_b32_e32 v12, v12, v19
	v_cmp_ne_u32_e32 vcc, v10, v14
	v_cndmask_b32_e64 v10, 0, 1, vcc
	v_cmp_ne_u32_e32 vcc, v12, v16
	v_cndmask_b32_e64 v12, 0, 1, vcc
	v_or_b32_e32 v10, v18, v10
	v_cmp_gt_i32_e32 vcc, 1, v11
	v_cndmask_b32_e32 v10, v15, v10, vcc
	v_or_b32_e32 v12, v19, v12
	v_cmp_gt_i32_e32 vcc, 1, v13
	v_and_b32_e32 v14, 7, v10
	v_cndmask_b32_e32 v12, v17, v12, vcc
	v_cmp_lt_i32_e32 vcc, 5, v14
	v_cmp_eq_u32_e64 s[0:1], 3, v14
	v_lshrrev_b32_e32 v10, 2, v10
	v_and_b32_e32 v15, 7, v12
	s_or_b64 vcc, s[0:1], vcc
	v_cmp_lt_i32_e64 s[2:3], 5, v15
	v_cmp_eq_u32_e64 s[4:5], 3, v15
	v_addc_co_u32_e32 v10, vcc, 0, v10, vcc
	v_lshrrev_b32_e32 v12, 2, v12
	s_or_b64 vcc, s[4:5], s[2:3]
	v_addc_co_u32_e32 v12, vcc, 0, v12, vcc
	v_cmp_gt_i32_e32 vcc, 31, v11
	v_cndmask_b32_e32 v10, v0, v10, vcc
	v_cmp_gt_i32_e32 vcc, 31, v13
	v_lshl_or_b32 v6, v6, 9, v0
	v_cndmask_b32_e32 v12, v0, v12, vcc
	v_cmp_eq_u32_e32 vcc, s18, v11
	v_lshrrev_b32_e32 v7, 16, v7
	v_lshl_or_b32 v8, v8, 9, v0
	v_cndmask_b32_e32 v6, v10, v6, vcc
	v_cmp_eq_u32_e32 vcc, s18, v13
	v_lshrrev_b32_e32 v9, 16, v9
	v_cndmask_b32_e32 v8, v12, v8, vcc
	v_and_or_b32 v6, v7, s17, v6
	v_and_or_b32 v7, v9, s17, v8
	v_and_b32_e32 v6, 0xffff, v6
	v_lshl_or_b32 v6, v7, 16, v6
	global_store_dword v[4:5], v6, off
	global_load_dword v8, v24, s[6:7] offset:616
	ds_read2_b32 v[6:7], v3 offset0:154 offset1:168
	v_add_co_u32_e32 v4, vcc, s11, v4
	s_waitcnt lgkmcnt(0)
	v_lshrrev_b32_e32 v9, 16, v6
	s_waitcnt vmcnt(0)
	v_mul_f16_sdwa v10, v9, v8 dst_sel:DWORD dst_unused:UNUSED_PAD src0_sel:DWORD src1_sel:WORD_1
	v_fma_f16 v10, v6, v8, v10
	v_mul_f16_sdwa v6, v6, v8 dst_sel:DWORD dst_unused:UNUSED_PAD src0_sel:DWORD src1_sel:WORD_1
	v_cvt_f32_f16_e32 v10, v10
	v_fma_f16 v6, v8, v9, -v6
	v_cvt_f32_f16_e32 v6, v6
	v_cvt_f64_f32_e32 v[8:9], v10
	v_cvt_f64_f32_e32 v[10:11], v6
	v_mov_b32_e32 v6, s12
	v_mul_f64 v[8:9], v[8:9], s[14:15]
	v_addc_co_u32_e32 v5, vcc, v5, v6, vcc
	v_mul_f64 v[10:11], v[10:11], s[14:15]
	v_and_or_b32 v6, v9, s16, v8
	v_cmp_ne_u32_e32 vcc, 0, v6
	v_lshrrev_b32_e32 v8, 8, v9
	v_and_or_b32 v10, v11, s16, v10
	v_bfe_u32 v12, v9, 20, 11
	v_cndmask_b32_e64 v6, 0, 1, vcc
	v_cmp_ne_u32_e32 vcc, 0, v10
	v_lshrrev_b32_e32 v13, 8, v11
	v_bfe_u32 v14, v11, 20, 11
	v_sub_u32_e32 v15, 0x3f1, v12
	v_cndmask_b32_e64 v10, 0, 1, vcc
	v_and_or_b32 v6, v8, s10, v6
	v_sub_u32_e32 v16, 0x3f1, v14
	v_med3_i32 v8, v15, 0, 13
	v_and_or_b32 v10, v13, s10, v10
	v_or_b32_e32 v15, 0x1000, v6
	v_add_u32_e32 v12, 0xfffffc10, v12
	v_med3_i32 v13, v16, 0, 13
	v_cmp_ne_u32_e32 vcc, 0, v6
	v_or_b32_e32 v17, 0x1000, v10
	v_lshrrev_b32_e32 v19, v8, v15
	v_add_u32_e32 v14, 0xfffffc10, v14
	v_lshl_or_b32 v16, v12, 12, v6
	v_cndmask_b32_e64 v6, 0, 1, vcc
	v_cmp_ne_u32_e32 vcc, 0, v10
	v_lshrrev_b32_e32 v20, v13, v17
	v_lshlrev_b32_e32 v8, v8, v19
	v_lshl_or_b32 v18, v14, 12, v10
	v_cndmask_b32_e64 v10, 0, 1, vcc
	v_lshlrev_b32_e32 v13, v13, v20
	v_cmp_ne_u32_e32 vcc, v8, v15
	v_cndmask_b32_e64 v8, 0, 1, vcc
	v_cmp_ne_u32_e32 vcc, v13, v17
	v_cndmask_b32_e64 v13, 0, 1, vcc
	v_or_b32_e32 v8, v19, v8
	v_cmp_gt_i32_e32 vcc, 1, v12
	v_cndmask_b32_e32 v8, v16, v8, vcc
	v_or_b32_e32 v13, v20, v13
	v_cmp_gt_i32_e32 vcc, 1, v14
	v_and_b32_e32 v15, 7, v8
	v_cndmask_b32_e32 v13, v18, v13, vcc
	v_cmp_lt_i32_e32 vcc, 5, v15
	v_cmp_eq_u32_e64 s[0:1], 3, v15
	v_lshrrev_b32_e32 v8, 2, v8
	v_and_b32_e32 v16, 7, v13
	s_or_b64 vcc, s[0:1], vcc
	v_cmp_lt_i32_e64 s[2:3], 5, v16
	v_cmp_eq_u32_e64 s[4:5], 3, v16
	v_addc_co_u32_e32 v8, vcc, 0, v8, vcc
	v_lshrrev_b32_e32 v13, 2, v13
	s_or_b64 vcc, s[4:5], s[2:3]
	v_addc_co_u32_e32 v13, vcc, 0, v13, vcc
	v_cmp_gt_i32_e32 vcc, 31, v12
	v_cndmask_b32_e32 v8, v0, v8, vcc
	v_cmp_gt_i32_e32 vcc, 31, v14
	v_lshl_or_b32 v6, v6, 9, v0
	v_cndmask_b32_e32 v13, v0, v13, vcc
	v_cmp_eq_u32_e32 vcc, s18, v12
	v_lshrrev_b32_e32 v9, 16, v9
	v_lshl_or_b32 v10, v10, 9, v0
	v_cndmask_b32_e32 v6, v8, v6, vcc
	v_cmp_eq_u32_e32 vcc, s18, v14
	v_lshrrev_b32_e32 v11, 16, v11
	v_cndmask_b32_e32 v8, v13, v10, vcc
	v_and_or_b32 v6, v9, s17, v6
	v_and_or_b32 v8, v11, s17, v8
	v_and_b32_e32 v6, 0xffff, v6
	v_lshl_or_b32 v6, v8, 16, v6
	global_store_dword v[4:5], v6, off
	global_load_dword v6, v24, s[6:7] offset:672
	v_lshrrev_b32_e32 v8, 16, v7
	v_mov_b32_e32 v10, s12
	v_add_co_u32_e32 v4, vcc, s11, v4
	v_addc_co_u32_e32 v5, vcc, v5, v10, vcc
	s_waitcnt vmcnt(0)
	v_mul_f16_sdwa v9, v8, v6 dst_sel:DWORD dst_unused:UNUSED_PAD src0_sel:DWORD src1_sel:WORD_1
	v_fma_f16 v9, v7, v6, v9
	v_mul_f16_sdwa v7, v7, v6 dst_sel:DWORD dst_unused:UNUSED_PAD src0_sel:DWORD src1_sel:WORD_1
	v_cvt_f32_f16_e32 v9, v9
	v_fma_f16 v6, v6, v8, -v7
	v_cvt_f32_f16_e32 v8, v6
	v_cvt_f64_f32_e32 v[6:7], v9
	v_cvt_f64_f32_e32 v[8:9], v8
	v_mul_f64 v[6:7], v[6:7], s[14:15]
	v_mul_f64 v[8:9], v[8:9], s[14:15]
	v_and_or_b32 v6, v7, s16, v6
	v_cmp_ne_u32_e32 vcc, 0, v6
	v_and_or_b32 v8, v9, s16, v8
	v_lshrrev_b32_e32 v10, 8, v7
	v_bfe_u32 v11, v7, 20, 11
	v_cndmask_b32_e64 v6, 0, 1, vcc
	v_cmp_ne_u32_e32 vcc, 0, v8
	v_lshrrev_b32_e32 v12, 8, v9
	v_bfe_u32 v13, v9, 20, 11
	v_sub_u32_e32 v14, 0x3f1, v11
	v_cndmask_b32_e64 v8, 0, 1, vcc
	v_and_or_b32 v6, v10, s10, v6
	v_sub_u32_e32 v15, 0x3f1, v13
	v_med3_i32 v10, v14, 0, 13
	v_and_or_b32 v8, v12, s10, v8
	v_or_b32_e32 v14, 0x1000, v6
	v_add_u32_e32 v11, 0xfffffc10, v11
	v_med3_i32 v12, v15, 0, 13
	v_cmp_ne_u32_e32 vcc, 0, v6
	v_or_b32_e32 v16, 0x1000, v8
	v_lshrrev_b32_e32 v18, v10, v14
	v_add_u32_e32 v13, 0xfffffc10, v13
	v_lshl_or_b32 v15, v11, 12, v6
	v_cndmask_b32_e64 v6, 0, 1, vcc
	v_cmp_ne_u32_e32 vcc, 0, v8
	v_lshrrev_b32_e32 v19, v12, v16
	v_lshlrev_b32_e32 v10, v10, v18
	v_lshl_or_b32 v17, v13, 12, v8
	v_cndmask_b32_e64 v8, 0, 1, vcc
	v_lshlrev_b32_e32 v12, v12, v19
	v_cmp_ne_u32_e32 vcc, v10, v14
	v_cndmask_b32_e64 v10, 0, 1, vcc
	v_cmp_ne_u32_e32 vcc, v12, v16
	v_cndmask_b32_e64 v12, 0, 1, vcc
	v_or_b32_e32 v10, v18, v10
	v_cmp_gt_i32_e32 vcc, 1, v11
	v_cndmask_b32_e32 v10, v15, v10, vcc
	v_or_b32_e32 v12, v19, v12
	v_cmp_gt_i32_e32 vcc, 1, v13
	v_and_b32_e32 v14, 7, v10
	v_cndmask_b32_e32 v12, v17, v12, vcc
	v_cmp_lt_i32_e32 vcc, 5, v14
	v_cmp_eq_u32_e64 s[0:1], 3, v14
	v_lshrrev_b32_e32 v10, 2, v10
	v_and_b32_e32 v15, 7, v12
	s_or_b64 vcc, s[0:1], vcc
	v_cmp_lt_i32_e64 s[2:3], 5, v15
	v_cmp_eq_u32_e64 s[4:5], 3, v15
	v_addc_co_u32_e32 v10, vcc, 0, v10, vcc
	v_lshrrev_b32_e32 v12, 2, v12
	s_or_b64 vcc, s[4:5], s[2:3]
	v_addc_co_u32_e32 v12, vcc, 0, v12, vcc
	v_cmp_gt_i32_e32 vcc, 31, v11
	v_cndmask_b32_e32 v10, v0, v10, vcc
	v_cmp_gt_i32_e32 vcc, 31, v13
	v_lshl_or_b32 v6, v6, 9, v0
	v_cndmask_b32_e32 v12, v0, v12, vcc
	v_cmp_eq_u32_e32 vcc, s18, v11
	v_lshrrev_b32_e32 v7, 16, v7
	v_lshl_or_b32 v8, v8, 9, v0
	v_cndmask_b32_e32 v6, v10, v6, vcc
	v_cmp_eq_u32_e32 vcc, s18, v13
	v_lshrrev_b32_e32 v9, 16, v9
	v_cndmask_b32_e32 v8, v12, v8, vcc
	v_and_or_b32 v6, v7, s17, v6
	v_and_or_b32 v7, v9, s17, v8
	v_and_b32_e32 v6, 0xffff, v6
	v_lshl_or_b32 v6, v7, 16, v6
	global_store_dword v[4:5], v6, off
	global_load_dword v8, v24, s[6:7] offset:728
	ds_read2_b32 v[6:7], v3 offset0:182 offset1:196
	v_add_co_u32_e32 v4, vcc, s11, v4
	s_waitcnt lgkmcnt(0)
	v_lshrrev_b32_e32 v9, 16, v6
	s_waitcnt vmcnt(0)
	v_mul_f16_sdwa v10, v9, v8 dst_sel:DWORD dst_unused:UNUSED_PAD src0_sel:DWORD src1_sel:WORD_1
	v_fma_f16 v10, v6, v8, v10
	v_mul_f16_sdwa v6, v6, v8 dst_sel:DWORD dst_unused:UNUSED_PAD src0_sel:DWORD src1_sel:WORD_1
	v_cvt_f32_f16_e32 v10, v10
	v_fma_f16 v6, v8, v9, -v6
	v_cvt_f32_f16_e32 v6, v6
	v_cvt_f64_f32_e32 v[8:9], v10
	v_cvt_f64_f32_e32 v[10:11], v6
	v_mov_b32_e32 v6, s12
	v_mul_f64 v[8:9], v[8:9], s[14:15]
	v_addc_co_u32_e32 v5, vcc, v5, v6, vcc
	v_mul_f64 v[10:11], v[10:11], s[14:15]
	v_and_or_b32 v6, v9, s16, v8
	v_cmp_ne_u32_e32 vcc, 0, v6
	v_lshrrev_b32_e32 v8, 8, v9
	v_and_or_b32 v10, v11, s16, v10
	v_bfe_u32 v12, v9, 20, 11
	v_cndmask_b32_e64 v6, 0, 1, vcc
	v_cmp_ne_u32_e32 vcc, 0, v10
	v_lshrrev_b32_e32 v13, 8, v11
	v_bfe_u32 v14, v11, 20, 11
	v_sub_u32_e32 v15, 0x3f1, v12
	v_cndmask_b32_e64 v10, 0, 1, vcc
	v_and_or_b32 v6, v8, s10, v6
	v_sub_u32_e32 v16, 0x3f1, v14
	v_med3_i32 v8, v15, 0, 13
	v_and_or_b32 v10, v13, s10, v10
	v_or_b32_e32 v15, 0x1000, v6
	v_add_u32_e32 v12, 0xfffffc10, v12
	v_med3_i32 v13, v16, 0, 13
	v_cmp_ne_u32_e32 vcc, 0, v6
	v_or_b32_e32 v17, 0x1000, v10
	v_lshrrev_b32_e32 v19, v8, v15
	v_add_u32_e32 v14, 0xfffffc10, v14
	v_lshl_or_b32 v16, v12, 12, v6
	v_cndmask_b32_e64 v6, 0, 1, vcc
	v_cmp_ne_u32_e32 vcc, 0, v10
	v_lshrrev_b32_e32 v20, v13, v17
	v_lshlrev_b32_e32 v8, v8, v19
	v_lshl_or_b32 v18, v14, 12, v10
	v_cndmask_b32_e64 v10, 0, 1, vcc
	v_lshlrev_b32_e32 v13, v13, v20
	v_cmp_ne_u32_e32 vcc, v8, v15
	v_cndmask_b32_e64 v8, 0, 1, vcc
	v_cmp_ne_u32_e32 vcc, v13, v17
	v_cndmask_b32_e64 v13, 0, 1, vcc
	v_or_b32_e32 v8, v19, v8
	v_cmp_gt_i32_e32 vcc, 1, v12
	v_cndmask_b32_e32 v8, v16, v8, vcc
	v_or_b32_e32 v13, v20, v13
	v_cmp_gt_i32_e32 vcc, 1, v14
	v_and_b32_e32 v15, 7, v8
	v_cndmask_b32_e32 v13, v18, v13, vcc
	v_cmp_lt_i32_e32 vcc, 5, v15
	v_cmp_eq_u32_e64 s[0:1], 3, v15
	v_lshrrev_b32_e32 v8, 2, v8
	v_and_b32_e32 v16, 7, v13
	s_or_b64 vcc, s[0:1], vcc
	v_cmp_lt_i32_e64 s[2:3], 5, v16
	v_cmp_eq_u32_e64 s[4:5], 3, v16
	v_addc_co_u32_e32 v8, vcc, 0, v8, vcc
	v_lshrrev_b32_e32 v13, 2, v13
	s_or_b64 vcc, s[4:5], s[2:3]
	v_addc_co_u32_e32 v13, vcc, 0, v13, vcc
	v_cmp_gt_i32_e32 vcc, 31, v12
	v_cndmask_b32_e32 v8, v0, v8, vcc
	v_cmp_gt_i32_e32 vcc, 31, v14
	v_lshl_or_b32 v6, v6, 9, v0
	v_cndmask_b32_e32 v13, v0, v13, vcc
	v_cmp_eq_u32_e32 vcc, s18, v12
	v_lshrrev_b32_e32 v9, 16, v9
	v_lshl_or_b32 v10, v10, 9, v0
	v_cndmask_b32_e32 v6, v8, v6, vcc
	v_cmp_eq_u32_e32 vcc, s18, v14
	v_lshrrev_b32_e32 v11, 16, v11
	v_cndmask_b32_e32 v8, v13, v10, vcc
	v_and_or_b32 v6, v9, s17, v6
	v_and_or_b32 v8, v11, s17, v8
	v_and_b32_e32 v6, 0xffff, v6
	v_lshl_or_b32 v6, v8, 16, v6
	global_store_dword v[4:5], v6, off
	global_load_dword v6, v24, s[6:7] offset:784
	v_lshrrev_b32_e32 v8, 16, v7
	v_mov_b32_e32 v10, s12
	v_add_co_u32_e32 v4, vcc, s11, v4
	v_addc_co_u32_e32 v5, vcc, v5, v10, vcc
	s_waitcnt vmcnt(0)
	v_mul_f16_sdwa v9, v8, v6 dst_sel:DWORD dst_unused:UNUSED_PAD src0_sel:DWORD src1_sel:WORD_1
	v_fma_f16 v9, v7, v6, v9
	v_mul_f16_sdwa v7, v7, v6 dst_sel:DWORD dst_unused:UNUSED_PAD src0_sel:DWORD src1_sel:WORD_1
	v_cvt_f32_f16_e32 v9, v9
	v_fma_f16 v6, v6, v8, -v7
	v_cvt_f32_f16_e32 v8, v6
	v_cvt_f64_f32_e32 v[6:7], v9
	v_cvt_f64_f32_e32 v[8:9], v8
	v_mul_f64 v[6:7], v[6:7], s[14:15]
	v_mul_f64 v[8:9], v[8:9], s[14:15]
	v_and_or_b32 v6, v7, s16, v6
	v_cmp_ne_u32_e32 vcc, 0, v6
	v_and_or_b32 v8, v9, s16, v8
	v_lshrrev_b32_e32 v10, 8, v7
	v_bfe_u32 v11, v7, 20, 11
	v_cndmask_b32_e64 v6, 0, 1, vcc
	v_cmp_ne_u32_e32 vcc, 0, v8
	v_lshrrev_b32_e32 v12, 8, v9
	v_bfe_u32 v13, v9, 20, 11
	v_sub_u32_e32 v14, 0x3f1, v11
	v_cndmask_b32_e64 v8, 0, 1, vcc
	v_and_or_b32 v6, v10, s10, v6
	v_sub_u32_e32 v15, 0x3f1, v13
	v_med3_i32 v10, v14, 0, 13
	v_and_or_b32 v8, v12, s10, v8
	v_or_b32_e32 v14, 0x1000, v6
	v_add_u32_e32 v11, 0xfffffc10, v11
	v_med3_i32 v12, v15, 0, 13
	v_cmp_ne_u32_e32 vcc, 0, v6
	v_or_b32_e32 v16, 0x1000, v8
	v_lshrrev_b32_e32 v18, v10, v14
	v_add_u32_e32 v13, 0xfffffc10, v13
	v_lshl_or_b32 v15, v11, 12, v6
	v_cndmask_b32_e64 v6, 0, 1, vcc
	v_cmp_ne_u32_e32 vcc, 0, v8
	v_lshrrev_b32_e32 v19, v12, v16
	v_lshlrev_b32_e32 v10, v10, v18
	v_lshl_or_b32 v17, v13, 12, v8
	v_cndmask_b32_e64 v8, 0, 1, vcc
	v_lshlrev_b32_e32 v12, v12, v19
	v_cmp_ne_u32_e32 vcc, v10, v14
	v_cndmask_b32_e64 v10, 0, 1, vcc
	v_cmp_ne_u32_e32 vcc, v12, v16
	v_cndmask_b32_e64 v12, 0, 1, vcc
	v_or_b32_e32 v10, v18, v10
	v_cmp_gt_i32_e32 vcc, 1, v11
	v_cndmask_b32_e32 v10, v15, v10, vcc
	v_or_b32_e32 v12, v19, v12
	v_cmp_gt_i32_e32 vcc, 1, v13
	v_and_b32_e32 v14, 7, v10
	v_cndmask_b32_e32 v12, v17, v12, vcc
	v_cmp_lt_i32_e32 vcc, 5, v14
	v_cmp_eq_u32_e64 s[0:1], 3, v14
	v_lshrrev_b32_e32 v10, 2, v10
	v_and_b32_e32 v15, 7, v12
	s_or_b64 vcc, s[0:1], vcc
	v_cmp_lt_i32_e64 s[2:3], 5, v15
	v_cmp_eq_u32_e64 s[4:5], 3, v15
	v_addc_co_u32_e32 v10, vcc, 0, v10, vcc
	v_lshrrev_b32_e32 v12, 2, v12
	s_or_b64 vcc, s[4:5], s[2:3]
	v_addc_co_u32_e32 v12, vcc, 0, v12, vcc
	v_cmp_gt_i32_e32 vcc, 31, v11
	v_cndmask_b32_e32 v10, v0, v10, vcc
	v_cmp_gt_i32_e32 vcc, 31, v13
	v_lshl_or_b32 v6, v6, 9, v0
	v_cndmask_b32_e32 v12, v0, v12, vcc
	v_cmp_eq_u32_e32 vcc, s18, v11
	v_lshrrev_b32_e32 v7, 16, v7
	v_lshl_or_b32 v8, v8, 9, v0
	v_cndmask_b32_e32 v6, v10, v6, vcc
	v_cmp_eq_u32_e32 vcc, s18, v13
	v_lshrrev_b32_e32 v9, 16, v9
	v_cndmask_b32_e32 v8, v12, v8, vcc
	v_and_or_b32 v6, v7, s17, v6
	v_and_or_b32 v7, v9, s17, v8
	v_and_b32_e32 v6, 0xffff, v6
	v_lshl_or_b32 v6, v7, 16, v6
	global_store_dword v[4:5], v6, off
	global_load_dword v8, v24, s[6:7] offset:840
	ds_read2_b32 v[6:7], v3 offset0:210 offset1:224
	s_waitcnt lgkmcnt(0)
	v_lshrrev_b32_e32 v3, 16, v6
	s_waitcnt vmcnt(0)
	v_mul_f16_sdwa v9, v3, v8 dst_sel:DWORD dst_unused:UNUSED_PAD src0_sel:DWORD src1_sel:WORD_1
	v_fma_f16 v9, v6, v8, v9
	v_mul_f16_sdwa v6, v6, v8 dst_sel:DWORD dst_unused:UNUSED_PAD src0_sel:DWORD src1_sel:WORD_1
	v_cvt_f32_f16_e32 v9, v9
	v_fma_f16 v3, v8, v3, -v6
	v_cvt_f32_f16_e32 v3, v3
	v_mov_b32_e32 v6, s12
	v_cvt_f64_f32_e32 v[8:9], v9
	v_cvt_f64_f32_e32 v[10:11], v3
	v_add_co_u32_e32 v3, vcc, s11, v4
	v_mul_f64 v[8:9], v[8:9], s[14:15]
	v_mul_f64 v[10:11], v[10:11], s[14:15]
	v_addc_co_u32_e32 v4, vcc, v5, v6, vcc
	v_and_or_b32 v5, v9, s16, v8
	v_and_or_b32 v10, v11, s16, v10
	v_cmp_ne_u32_e32 vcc, 0, v5
	v_lshrrev_b32_e32 v6, 8, v9
	v_bfe_u32 v8, v9, 20, 11
	v_cndmask_b32_e64 v5, 0, 1, vcc
	v_cmp_ne_u32_e32 vcc, 0, v10
	v_lshrrev_b32_e32 v12, 8, v11
	v_bfe_u32 v13, v11, 20, 11
	v_sub_u32_e32 v14, 0x3f1, v8
	v_cndmask_b32_e64 v10, 0, 1, vcc
	v_and_or_b32 v5, v6, s10, v5
	v_sub_u32_e32 v15, 0x3f1, v13
	v_med3_i32 v6, v14, 0, 13
	v_and_or_b32 v10, v12, s10, v10
	v_or_b32_e32 v14, 0x1000, v5
	v_add_u32_e32 v8, 0xfffffc10, v8
	v_med3_i32 v12, v15, 0, 13
	v_cmp_ne_u32_e32 vcc, 0, v5
	v_or_b32_e32 v16, 0x1000, v10
	v_lshrrev_b32_e32 v18, v6, v14
	v_add_u32_e32 v13, 0xfffffc10, v13
	v_lshl_or_b32 v15, v8, 12, v5
	v_cndmask_b32_e64 v5, 0, 1, vcc
	v_cmp_ne_u32_e32 vcc, 0, v10
	v_lshrrev_b32_e32 v19, v12, v16
	v_lshlrev_b32_e32 v6, v6, v18
	v_lshl_or_b32 v17, v13, 12, v10
	v_cndmask_b32_e64 v10, 0, 1, vcc
	v_lshlrev_b32_e32 v12, v12, v19
	v_cmp_ne_u32_e32 vcc, v6, v14
	v_cndmask_b32_e64 v6, 0, 1, vcc
	v_cmp_ne_u32_e32 vcc, v12, v16
	v_cndmask_b32_e64 v12, 0, 1, vcc
	v_or_b32_e32 v6, v18, v6
	v_cmp_gt_i32_e32 vcc, 1, v8
	v_cndmask_b32_e32 v6, v15, v6, vcc
	v_or_b32_e32 v12, v19, v12
	v_cmp_gt_i32_e32 vcc, 1, v13
	v_and_b32_e32 v14, 7, v6
	v_cndmask_b32_e32 v12, v17, v12, vcc
	v_cmp_lt_i32_e32 vcc, 5, v14
	v_cmp_eq_u32_e64 s[0:1], 3, v14
	v_lshrrev_b32_e32 v6, 2, v6
	v_and_b32_e32 v15, 7, v12
	s_or_b64 vcc, s[0:1], vcc
	v_cmp_lt_i32_e64 s[2:3], 5, v15
	v_cmp_eq_u32_e64 s[4:5], 3, v15
	v_addc_co_u32_e32 v6, vcc, 0, v6, vcc
	v_lshrrev_b32_e32 v12, 2, v12
	s_or_b64 vcc, s[4:5], s[2:3]
	v_addc_co_u32_e32 v12, vcc, 0, v12, vcc
	v_cmp_gt_i32_e32 vcc, 31, v8
	v_cndmask_b32_e32 v6, v0, v6, vcc
	v_cmp_gt_i32_e32 vcc, 31, v13
	v_lshl_or_b32 v5, v5, 9, v0
	v_cndmask_b32_e32 v12, v0, v12, vcc
	v_cmp_eq_u32_e32 vcc, s18, v8
	v_lshrrev_b32_e32 v9, 16, v9
	v_lshl_or_b32 v10, v10, 9, v0
	v_cndmask_b32_e32 v5, v6, v5, vcc
	v_cmp_eq_u32_e32 vcc, s18, v13
	v_lshrrev_b32_e32 v11, 16, v11
	v_cndmask_b32_e32 v6, v12, v10, vcc
	v_and_or_b32 v5, v9, s17, v5
	v_and_or_b32 v6, v11, s17, v6
	v_and_b32_e32 v5, 0xffff, v5
	v_lshl_or_b32 v5, v6, 16, v5
	global_store_dword v[3:4], v5, off
	global_load_dword v5, v24, s[6:7] offset:896
	v_lshrrev_b32_e32 v6, 16, v7
	v_or_b32_e32 v9, 0xe0, v23
	v_mad_u64_u32 v[3:4], s[0:1], s8, v9, 0
	s_waitcnt vmcnt(0)
	v_mul_f16_sdwa v8, v6, v5 dst_sel:DWORD dst_unused:UNUSED_PAD src0_sel:DWORD src1_sel:WORD_1
	v_fma_f16 v8, v7, v5, v8
	v_cvt_f32_f16_e32 v8, v8
	v_mul_f16_sdwa v7, v7, v5 dst_sel:DWORD dst_unused:UNUSED_PAD src0_sel:DWORD src1_sel:WORD_1
	v_fma_f16 v5, v5, v6, -v7
	v_cvt_f32_f16_e32 v7, v5
	v_cvt_f64_f32_e32 v[5:6], v8
	v_cvt_f64_f32_e32 v[7:8], v7
	v_mul_f64 v[5:6], v[5:6], s[14:15]
	v_mul_f64 v[7:8], v[7:8], s[14:15]
	v_mad_u64_u32 v[9:10], s[0:1], s9, v9, v[4:5]
	v_and_or_b32 v5, v6, s16, v5
	v_and_or_b32 v7, v8, s16, v7
	v_cmp_ne_u32_e32 vcc, 0, v5
	v_mov_b32_e32 v4, v9
	v_lshrrev_b32_e32 v9, 8, v6
	v_bfe_u32 v10, v6, 20, 11
	v_cndmask_b32_e64 v5, 0, 1, vcc
	v_cmp_ne_u32_e32 vcc, 0, v7
	v_lshrrev_b32_e32 v11, 8, v8
	v_bfe_u32 v12, v8, 20, 11
	v_sub_u32_e32 v13, 0x3f1, v10
	v_cndmask_b32_e64 v7, 0, 1, vcc
	v_and_or_b32 v5, v9, s10, v5
	v_sub_u32_e32 v14, 0x3f1, v12
	v_med3_i32 v9, v13, 0, 13
	v_and_or_b32 v7, v11, s10, v7
	v_or_b32_e32 v13, 0x1000, v5
	v_add_u32_e32 v10, 0xfffffc10, v10
	v_med3_i32 v11, v14, 0, 13
	v_cmp_ne_u32_e32 vcc, 0, v5
	v_or_b32_e32 v15, 0x1000, v7
	v_lshrrev_b32_e32 v17, v9, v13
	v_add_u32_e32 v12, 0xfffffc10, v12
	v_lshl_or_b32 v14, v10, 12, v5
	v_cndmask_b32_e64 v5, 0, 1, vcc
	v_cmp_ne_u32_e32 vcc, 0, v7
	v_lshrrev_b32_e32 v18, v11, v15
	v_lshlrev_b32_e32 v9, v9, v17
	v_lshl_or_b32 v16, v12, 12, v7
	v_cndmask_b32_e64 v7, 0, 1, vcc
	v_lshlrev_b32_e32 v11, v11, v18
	v_cmp_ne_u32_e32 vcc, v9, v13
	v_cndmask_b32_e64 v9, 0, 1, vcc
	v_cmp_ne_u32_e32 vcc, v11, v15
	v_cndmask_b32_e64 v11, 0, 1, vcc
	v_or_b32_e32 v9, v17, v9
	v_cmp_gt_i32_e32 vcc, 1, v10
	v_cndmask_b32_e32 v9, v14, v9, vcc
	v_or_b32_e32 v11, v18, v11
	v_cmp_gt_i32_e32 vcc, 1, v12
	v_and_b32_e32 v13, 7, v9
	v_cndmask_b32_e32 v11, v16, v11, vcc
	v_cmp_lt_i32_e32 vcc, 5, v13
	v_cmp_eq_u32_e64 s[0:1], 3, v13
	v_lshrrev_b32_e32 v9, 2, v9
	v_and_b32_e32 v14, 7, v11
	s_or_b64 vcc, s[0:1], vcc
	v_cmp_lt_i32_e64 s[2:3], 5, v14
	v_cmp_eq_u32_e64 s[4:5], 3, v14
	v_addc_co_u32_e32 v9, vcc, 0, v9, vcc
	v_lshrrev_b32_e32 v11, 2, v11
	s_or_b64 vcc, s[4:5], s[2:3]
	v_addc_co_u32_e32 v11, vcc, 0, v11, vcc
	v_cmp_gt_i32_e32 vcc, 31, v10
	v_cndmask_b32_e32 v9, v0, v9, vcc
	v_cmp_gt_i32_e32 vcc, 31, v12
	v_lshl_or_b32 v5, v5, 9, v0
	v_lshl_or_b32 v7, v7, 9, v0
	v_cndmask_b32_e32 v0, v0, v11, vcc
	v_cmp_eq_u32_e32 vcc, s18, v10
	v_lshrrev_b32_e32 v6, 16, v6
	v_cndmask_b32_e32 v5, v9, v5, vcc
	v_cmp_eq_u32_e32 vcc, s18, v12
	v_lshlrev_b64 v[3:4], 2, v[3:4]
	v_lshrrev_b32_e32 v8, 16, v8
	v_cndmask_b32_e32 v0, v0, v7, vcc
	v_and_or_b32 v5, v6, s17, v5
	v_and_or_b32 v0, v8, s17, v0
	v_and_b32_e32 v5, 0xffff, v5
	v_lshl_or_b32 v5, v0, 16, v5
	v_add_co_u32_e32 v0, vcc, v1, v3
	v_addc_co_u32_e32 v1, vcc, v2, v4, vcc
	global_store_dword v[0:1], v5, off
.LBB0_15:
	s_endpgm
	.section	.rodata,"a",@progbits
	.p2align	6, 0x0
	.amdhsa_kernel bluestein_single_back_len238_dim1_half_op_CI_CI
		.amdhsa_group_segment_fixed_size 2856
		.amdhsa_private_segment_fixed_size 0
		.amdhsa_kernarg_size 104
		.amdhsa_user_sgpr_count 6
		.amdhsa_user_sgpr_private_segment_buffer 1
		.amdhsa_user_sgpr_dispatch_ptr 0
		.amdhsa_user_sgpr_queue_ptr 0
		.amdhsa_user_sgpr_kernarg_segment_ptr 1
		.amdhsa_user_sgpr_dispatch_id 0
		.amdhsa_user_sgpr_flat_scratch_init 0
		.amdhsa_user_sgpr_private_segment_size 0
		.amdhsa_uses_dynamic_stack 0
		.amdhsa_system_sgpr_private_segment_wavefront_offset 0
		.amdhsa_system_sgpr_workgroup_id_x 1
		.amdhsa_system_sgpr_workgroup_id_y 0
		.amdhsa_system_sgpr_workgroup_id_z 0
		.amdhsa_system_sgpr_workgroup_info 0
		.amdhsa_system_vgpr_workitem_id 0
		.amdhsa_next_free_vgpr 183
		.amdhsa_next_free_sgpr 44
		.amdhsa_reserve_vcc 1
		.amdhsa_reserve_flat_scratch 0
		.amdhsa_float_round_mode_32 0
		.amdhsa_float_round_mode_16_64 0
		.amdhsa_float_denorm_mode_32 3
		.amdhsa_float_denorm_mode_16_64 3
		.amdhsa_dx10_clamp 1
		.amdhsa_ieee_mode 1
		.amdhsa_fp16_overflow 0
		.amdhsa_exception_fp_ieee_invalid_op 0
		.amdhsa_exception_fp_denorm_src 0
		.amdhsa_exception_fp_ieee_div_zero 0
		.amdhsa_exception_fp_ieee_overflow 0
		.amdhsa_exception_fp_ieee_underflow 0
		.amdhsa_exception_fp_ieee_inexact 0
		.amdhsa_exception_int_div_zero 0
	.end_amdhsa_kernel
	.text
.Lfunc_end0:
	.size	bluestein_single_back_len238_dim1_half_op_CI_CI, .Lfunc_end0-bluestein_single_back_len238_dim1_half_op_CI_CI
                                        ; -- End function
	.section	.AMDGPU.csdata,"",@progbits
; Kernel info:
; codeLenInByte = 26572
; NumSgprs: 48
; NumVgprs: 183
; ScratchSize: 0
; MemoryBound: 0
; FloatMode: 240
; IeeeMode: 1
; LDSByteSize: 2856 bytes/workgroup (compile time only)
; SGPRBlocks: 5
; VGPRBlocks: 45
; NumSGPRsForWavesPerEU: 48
; NumVGPRsForWavesPerEU: 183
; Occupancy: 1
; WaveLimiterHint : 1
; COMPUTE_PGM_RSRC2:SCRATCH_EN: 0
; COMPUTE_PGM_RSRC2:USER_SGPR: 6
; COMPUTE_PGM_RSRC2:TRAP_HANDLER: 0
; COMPUTE_PGM_RSRC2:TGID_X_EN: 1
; COMPUTE_PGM_RSRC2:TGID_Y_EN: 0
; COMPUTE_PGM_RSRC2:TGID_Z_EN: 0
; COMPUTE_PGM_RSRC2:TIDIG_COMP_CNT: 0
	.type	__hip_cuid_ec564d79e9065eae,@object ; @__hip_cuid_ec564d79e9065eae
	.section	.bss,"aw",@nobits
	.globl	__hip_cuid_ec564d79e9065eae
__hip_cuid_ec564d79e9065eae:
	.byte	0                               ; 0x0
	.size	__hip_cuid_ec564d79e9065eae, 1

	.ident	"AMD clang version 19.0.0git (https://github.com/RadeonOpenCompute/llvm-project roc-6.4.0 25133 c7fe45cf4b819c5991fe208aaa96edf142730f1d)"
	.section	".note.GNU-stack","",@progbits
	.addrsig
	.addrsig_sym __hip_cuid_ec564d79e9065eae
	.amdgpu_metadata
---
amdhsa.kernels:
  - .args:
      - .actual_access:  read_only
        .address_space:  global
        .offset:         0
        .size:           8
        .value_kind:     global_buffer
      - .actual_access:  read_only
        .address_space:  global
        .offset:         8
        .size:           8
        .value_kind:     global_buffer
      - .actual_access:  read_only
        .address_space:  global
        .offset:         16
        .size:           8
        .value_kind:     global_buffer
      - .actual_access:  read_only
        .address_space:  global
        .offset:         24
        .size:           8
        .value_kind:     global_buffer
      - .actual_access:  read_only
        .address_space:  global
        .offset:         32
        .size:           8
        .value_kind:     global_buffer
      - .offset:         40
        .size:           8
        .value_kind:     by_value
      - .address_space:  global
        .offset:         48
        .size:           8
        .value_kind:     global_buffer
      - .address_space:  global
        .offset:         56
        .size:           8
        .value_kind:     global_buffer
      - .address_space:  global
        .offset:         64
        .size:           8
        .value_kind:     global_buffer
      - .address_space:  global
        .offset:         72
        .size:           8
        .value_kind:     global_buffer
      - .offset:         80
        .size:           4
        .value_kind:     by_value
      - .address_space:  global
        .offset:         88
        .size:           8
        .value_kind:     global_buffer
      - .address_space:  global
        .offset:         96
        .size:           8
        .value_kind:     global_buffer
    .group_segment_fixed_size: 2856
    .kernarg_segment_align: 8
    .kernarg_segment_size: 104
    .language:       OpenCL C
    .language_version:
      - 2
      - 0
    .max_flat_workgroup_size: 51
    .name:           bluestein_single_back_len238_dim1_half_op_CI_CI
    .private_segment_fixed_size: 0
    .sgpr_count:     48
    .sgpr_spill_count: 0
    .symbol:         bluestein_single_back_len238_dim1_half_op_CI_CI.kd
    .uniform_work_group_size: 1
    .uses_dynamic_stack: false
    .vgpr_count:     183
    .vgpr_spill_count: 0
    .wavefront_size: 64
amdhsa.target:   amdgcn-amd-amdhsa--gfx906
amdhsa.version:
  - 1
  - 2
...

	.end_amdgpu_metadata
